;; amdgpu-corpus repo=ROCm/rocFFT kind=compiled arch=gfx950 opt=O3
	.text
	.amdgcn_target "amdgcn-amd-amdhsa--gfx950"
	.amdhsa_code_object_version 6
	.protected	fft_rtc_back_len884_factors_13_4_17_wgs_204_tpt_68_halfLds_sp_op_CI_CI_sbrr_dirReg ; -- Begin function fft_rtc_back_len884_factors_13_4_17_wgs_204_tpt_68_halfLds_sp_op_CI_CI_sbrr_dirReg
	.globl	fft_rtc_back_len884_factors_13_4_17_wgs_204_tpt_68_halfLds_sp_op_CI_CI_sbrr_dirReg
	.p2align	8
	.type	fft_rtc_back_len884_factors_13_4_17_wgs_204_tpt_68_halfLds_sp_op_CI_CI_sbrr_dirReg,@function
fft_rtc_back_len884_factors_13_4_17_wgs_204_tpt_68_halfLds_sp_op_CI_CI_sbrr_dirReg: ; @fft_rtc_back_len884_factors_13_4_17_wgs_204_tpt_68_halfLds_sp_op_CI_CI_sbrr_dirReg
; %bb.0:
	s_load_dwordx4 s[12:15], s[0:1], 0x18
	s_load_dwordx4 s[8:11], s[0:1], 0x0
	;; [unrolled: 1-line block ×3, first 2 shown]
	v_mul_u32_u24_e32 v1, 0x3c4, v0
	v_lshrrev_b32_e32 v2, 16, v1
	s_waitcnt lgkmcnt(0)
	s_load_dwordx2 s[18:19], s[12:13], 0x0
	s_load_dwordx2 s[16:17], s[14:15], 0x0
	v_mad_u64_u32 v[20:21], s[2:3], s2, 3, v[2:3]
	v_mov_b32_e32 v2, 0
	v_mov_b32_e32 v21, v2
	v_cmp_lt_u64_e64 s[2:3], s[10:11], 2
	v_mov_b64_e32 v[22:23], 0
	s_and_b64 vcc, exec, s[2:3]
	v_mov_b64_e32 v[16:17], v[22:23]
	v_mov_b64_e32 v[18:19], v[20:21]
	s_cbranch_vccnz .LBB0_8
; %bb.1:
	s_load_dwordx2 s[2:3], s[0:1], 0x10
	s_add_u32 s20, s14, 8
	s_addc_u32 s21, s15, 0
	s_add_u32 s22, s12, 8
	s_addc_u32 s23, s13, 0
	s_waitcnt lgkmcnt(0)
	s_add_u32 s24, s2, 8
	v_mov_b64_e32 v[22:23], 0
	s_addc_u32 s25, s3, 0
	s_mov_b64 s[26:27], 1
	v_mov_b64_e32 v[16:17], v[22:23]
	v_mov_b64_e32 v[4:5], v[20:21]
.LBB0_2:                                ; =>This Inner Loop Header: Depth=1
	s_load_dwordx2 s[28:29], s[24:25], 0x0
                                        ; implicit-def: $vgpr18_vgpr19
	s_waitcnt lgkmcnt(0)
	v_or_b32_e32 v3, s29, v5
	v_cmp_ne_u64_e32 vcc, 0, v[2:3]
	s_and_saveexec_b64 s[2:3], vcc
	s_xor_b64 s[30:31], exec, s[2:3]
	s_cbranch_execz .LBB0_4
; %bb.3:                                ;   in Loop: Header=BB0_2 Depth=1
	v_cvt_f32_u32_e32 v1, s28
	v_cvt_f32_u32_e32 v3, s29
	s_sub_u32 s2, 0, s28
	s_subb_u32 s3, 0, s29
	v_fmac_f32_e32 v1, 0x4f800000, v3
	v_rcp_f32_e32 v1, v1
	s_nop 0
	v_mul_f32_e32 v1, 0x5f7ffffc, v1
	v_mul_f32_e32 v3, 0x2f800000, v1
	v_trunc_f32_e32 v3, v3
	v_fmac_f32_e32 v1, 0xcf800000, v3
	v_cvt_u32_f32_e32 v3, v3
	v_cvt_u32_f32_e32 v1, v1
	v_mul_lo_u32 v6, s2, v3
	v_mul_hi_u32 v8, s2, v1
	v_mul_lo_u32 v7, s3, v1
	v_add_u32_e32 v8, v8, v6
	v_mul_lo_u32 v10, s2, v1
	v_add_u32_e32 v11, v8, v7
	v_mul_hi_u32 v6, v1, v10
	v_mul_hi_u32 v9, v1, v11
	v_mul_lo_u32 v8, v1, v11
	v_mov_b32_e32 v7, v2
	v_lshl_add_u64 v[6:7], v[6:7], 0, v[8:9]
	v_mul_hi_u32 v9, v3, v10
	v_mul_lo_u32 v10, v3, v10
	v_add_co_u32_e32 v6, vcc, v6, v10
	v_mul_hi_u32 v8, v3, v11
	s_nop 0
	v_addc_co_u32_e32 v6, vcc, v7, v9, vcc
	v_mov_b32_e32 v7, v2
	s_nop 0
	v_addc_co_u32_e32 v9, vcc, 0, v8, vcc
	v_mul_lo_u32 v8, v3, v11
	v_lshl_add_u64 v[6:7], v[6:7], 0, v[8:9]
	v_add_co_u32_e32 v1, vcc, v1, v6
	v_mul_lo_u32 v8, s2, v1
	s_nop 0
	v_addc_co_u32_e32 v3, vcc, v3, v7, vcc
	v_mul_lo_u32 v6, s2, v3
	v_mul_hi_u32 v7, s2, v1
	v_add_u32_e32 v6, v7, v6
	v_mul_lo_u32 v7, s3, v1
	v_add_u32_e32 v10, v6, v7
	v_mul_hi_u32 v12, v3, v8
	v_mul_lo_u32 v13, v3, v8
	v_mul_hi_u32 v7, v1, v10
	v_mul_lo_u32 v6, v1, v10
	v_mul_hi_u32 v8, v1, v8
	v_mov_b32_e32 v9, v2
	v_lshl_add_u64 v[6:7], v[8:9], 0, v[6:7]
	v_add_co_u32_e32 v6, vcc, v6, v13
	v_mul_hi_u32 v11, v3, v10
	s_nop 0
	v_addc_co_u32_e32 v6, vcc, v7, v12, vcc
	v_mul_lo_u32 v8, v3, v10
	s_nop 0
	v_addc_co_u32_e32 v9, vcc, 0, v11, vcc
	v_mov_b32_e32 v7, v2
	v_lshl_add_u64 v[6:7], v[6:7], 0, v[8:9]
	v_add_co_u32_e32 v1, vcc, v1, v6
	v_mul_hi_u32 v8, v4, v1
	s_nop 0
	v_addc_co_u32_e32 v3, vcc, v3, v7, vcc
	v_mad_u64_u32 v[6:7], s[2:3], v4, v3, 0
	v_mov_b32_e32 v9, v2
	v_lshl_add_u64 v[6:7], v[8:9], 0, v[6:7]
	v_mad_u64_u32 v[10:11], s[2:3], v5, v1, 0
	v_add_co_u32_e32 v1, vcc, v6, v10
	v_mad_u64_u32 v[8:9], s[2:3], v5, v3, 0
	s_nop 0
	v_addc_co_u32_e32 v6, vcc, v7, v11, vcc
	v_mov_b32_e32 v7, v2
	s_nop 0
	v_addc_co_u32_e32 v9, vcc, 0, v9, vcc
	v_lshl_add_u64 v[6:7], v[6:7], 0, v[8:9]
	v_mul_lo_u32 v1, s29, v6
	v_mul_lo_u32 v3, s28, v7
	v_mad_u64_u32 v[8:9], s[2:3], s28, v6, 0
	v_add3_u32 v1, v9, v3, v1
	v_sub_u32_e32 v3, v5, v1
	v_mov_b32_e32 v9, s29
	v_sub_co_u32_e32 v12, vcc, v4, v8
	v_lshl_add_u64 v[10:11], v[6:7], 0, 1
	s_nop 0
	v_subb_co_u32_e64 v3, s[2:3], v3, v9, vcc
	v_subrev_co_u32_e64 v8, s[2:3], s28, v12
	v_subb_co_u32_e32 v1, vcc, v5, v1, vcc
	s_nop 0
	v_subbrev_co_u32_e64 v3, s[2:3], 0, v3, s[2:3]
	v_cmp_le_u32_e64 s[2:3], s29, v3
	v_cmp_le_u32_e32 vcc, s29, v1
	s_nop 0
	v_cndmask_b32_e64 v9, 0, -1, s[2:3]
	v_cmp_le_u32_e64 s[2:3], s28, v8
	s_nop 1
	v_cndmask_b32_e64 v8, 0, -1, s[2:3]
	v_cmp_eq_u32_e64 s[2:3], s29, v3
	s_nop 1
	v_cndmask_b32_e64 v3, v9, v8, s[2:3]
	v_lshl_add_u64 v[8:9], v[6:7], 0, 2
	v_cmp_ne_u32_e64 s[2:3], 0, v3
	s_nop 1
	v_cndmask_b32_e64 v3, v11, v9, s[2:3]
	v_cndmask_b32_e64 v9, 0, -1, vcc
	v_cmp_le_u32_e32 vcc, s28, v12
	s_nop 1
	v_cndmask_b32_e64 v11, 0, -1, vcc
	v_cmp_eq_u32_e32 vcc, s29, v1
	s_nop 1
	v_cndmask_b32_e32 v1, v9, v11, vcc
	v_cmp_ne_u32_e32 vcc, 0, v1
	v_cndmask_b32_e64 v1, v10, v8, s[2:3]
	s_nop 0
	v_cndmask_b32_e32 v19, v7, v3, vcc
	v_cndmask_b32_e32 v18, v6, v1, vcc
.LBB0_4:                                ;   in Loop: Header=BB0_2 Depth=1
	s_andn2_saveexec_b64 s[2:3], s[30:31]
	s_cbranch_execz .LBB0_6
; %bb.5:                                ;   in Loop: Header=BB0_2 Depth=1
	v_cvt_f32_u32_e32 v1, s28
	s_sub_i32 s30, 0, s28
	v_mov_b32_e32 v19, v2
	v_rcp_iflag_f32_e32 v1, v1
	s_nop 0
	v_mul_f32_e32 v1, 0x4f7ffffe, v1
	v_cvt_u32_f32_e32 v1, v1
	v_mul_lo_u32 v3, s30, v1
	v_mul_hi_u32 v3, v1, v3
	v_add_u32_e32 v1, v1, v3
	v_mul_hi_u32 v1, v4, v1
	v_mul_lo_u32 v3, v1, s28
	v_sub_u32_e32 v3, v4, v3
	v_add_u32_e32 v6, 1, v1
	v_subrev_u32_e32 v7, s28, v3
	v_cmp_le_u32_e32 vcc, s28, v3
	s_nop 1
	v_cndmask_b32_e32 v3, v3, v7, vcc
	v_cndmask_b32_e32 v1, v1, v6, vcc
	v_add_u32_e32 v6, 1, v1
	v_cmp_le_u32_e32 vcc, s28, v3
	s_nop 1
	v_cndmask_b32_e32 v18, v1, v6, vcc
.LBB0_6:                                ;   in Loop: Header=BB0_2 Depth=1
	s_or_b64 exec, exec, s[2:3]
	v_mad_u64_u32 v[6:7], s[2:3], v18, s28, 0
	s_load_dwordx2 s[2:3], s[22:23], 0x0
	v_mul_lo_u32 v1, v19, s28
	v_mul_lo_u32 v3, v18, s29
	s_load_dwordx2 s[28:29], s[20:21], 0x0
	s_add_u32 s26, s26, 1
	v_add3_u32 v1, v7, v3, v1
	v_sub_co_u32_e32 v3, vcc, v4, v6
	s_addc_u32 s27, s27, 0
	s_nop 0
	v_subb_co_u32_e32 v1, vcc, v5, v1, vcc
	s_add_u32 s20, s20, 8
	s_waitcnt lgkmcnt(0)
	v_mul_lo_u32 v4, s2, v1
	v_mul_lo_u32 v5, s3, v3
	v_mad_u64_u32 v[22:23], s[2:3], s2, v3, v[22:23]
	s_addc_u32 s21, s21, 0
	v_add3_u32 v23, v5, v23, v4
	v_mul_lo_u32 v1, s28, v1
	v_mul_lo_u32 v4, s29, v3
	v_mad_u64_u32 v[16:17], s[2:3], s28, v3, v[16:17]
	s_add_u32 s22, s22, 8
	v_add3_u32 v17, v4, v17, v1
	s_addc_u32 s23, s23, 0
	v_mov_b64_e32 v[4:5], s[10:11]
	s_add_u32 s24, s24, 8
	v_cmp_ge_u64_e32 vcc, s[26:27], v[4:5]
	s_addc_u32 s25, s25, 0
	s_cbranch_vccnz .LBB0_8
; %bb.7:                                ;   in Loop: Header=BB0_2 Depth=1
	v_mov_b64_e32 v[4:5], v[18:19]
	s_branch .LBB0_2
.LBB0_8:
	s_load_dwordx2 s[0:1], s[0:1], 0x28
	s_lshl_b64 s[10:11], s[10:11], 3
	s_add_u32 s2, s14, s10
	s_addc_u32 s3, s15, s11
                                        ; implicit-def: $sgpr14_sgpr15
                                        ; implicit-def: $vgpr62
                                        ; implicit-def: $vgpr65
                                        ; implicit-def: $vgpr64
                                        ; implicit-def: $vgpr63
	s_waitcnt lgkmcnt(0)
	v_cmp_gt_u64_e32 vcc, s[0:1], v[18:19]
	v_cmp_le_u64_e64 s[0:1], s[0:1], v[18:19]
	s_and_saveexec_b64 s[20:21], s[0:1]
	s_xor_b64 s[0:1], exec, s[20:21]
; %bb.9:
	s_mov_b32 s14, 0x3c3c3c4
	v_mul_hi_u32 v1, v0, s14
	v_mul_u32_u24_e32 v1, 0x44, v1
	v_sub_u32_e32 v62, v0, v1
	v_add_u32_e32 v65, 0x44, v62
	v_add_u32_e32 v64, 0x88, v62
	;; [unrolled: 1-line block ×3, first 2 shown]
	s_mov_b64 s[14:15], 0
                                        ; implicit-def: $vgpr0
                                        ; implicit-def: $vgpr22_vgpr23
; %bb.10:
	s_or_saveexec_b64 s[0:1], s[0:1]
	v_mov_b64_e32 v[2:3], s[14:15]
                                        ; implicit-def: $vgpr36
                                        ; implicit-def: $vgpr34
                                        ; implicit-def: $vgpr10
                                        ; implicit-def: $vgpr12
                                        ; implicit-def: $vgpr8
                                        ; implicit-def: $vgpr6
                                        ; implicit-def: $vgpr4
                                        ; implicit-def: $vgpr32
                                        ; implicit-def: $vgpr30
                                        ; implicit-def: $vgpr26
                                        ; implicit-def: $vgpr14
                                        ; implicit-def: $vgpr28
	s_xor_b64 exec, exec, s[0:1]
	s_cbranch_execz .LBB0_12
; %bb.11:
	s_add_u32 s10, s12, s10
	s_addc_u32 s11, s13, s11
	s_load_dwordx2 s[10:11], s[10:11], 0x0
	s_mov_b32 s12, 0x3c3c3c4
	s_waitcnt lgkmcnt(0)
	v_mul_lo_u32 v1, s11, v18
	v_mul_lo_u32 v4, s10, v19
	v_mad_u64_u32 v[2:3], s[10:11], s10, v18, 0
	v_add3_u32 v3, v3, v4, v1
	v_mul_hi_u32 v1, v0, s12
	v_mul_u32_u24_e32 v1, 0x44, v1
	v_sub_u32_e32 v62, v0, v1
	v_mad_u64_u32 v[0:1], s[10:11], s18, v62, 0
	v_mov_b32_e32 v4, v1
	v_lshl_add_u64 v[2:3], v[2:3], 3, s[4:5]
	v_add_u32_e32 v65, 0x44, v62
	v_mad_u64_u32 v[4:5], s[10:11], s19, v62, v[4:5]
	v_lshl_add_u64 v[14:15], v[22:23], 3, v[2:3]
	v_mad_u64_u32 v[2:3], s[4:5], s18, v65, 0
	v_mov_b32_e32 v1, v4
	v_mov_b32_e32 v4, v3
	v_mad_u64_u32 v[4:5], s[4:5], s19, v65, v[4:5]
	v_mov_b32_e32 v3, v4
	v_add_u32_e32 v64, 0x88, v62
	v_lshl_add_u64 v[4:5], v[2:3], 3, v[14:15]
	v_mad_u64_u32 v[2:3], s[4:5], s18, v64, 0
	v_mov_b32_e32 v6, v3
	v_mad_u64_u32 v[6:7], s[4:5], s19, v64, v[6:7]
	v_mov_b32_e32 v3, v6
	v_add_u32_e32 v63, 0xcc, v62
	v_lshl_add_u64 v[6:7], v[2:3], 3, v[14:15]
	v_mad_u64_u32 v[2:3], s[4:5], s18, v63, 0
	v_mov_b32_e32 v8, v3
	v_mad_u64_u32 v[8:9], s[4:5], s19, v63, v[8:9]
	v_lshl_add_u64 v[0:1], v[0:1], 3, v[14:15]
	v_mov_b32_e32 v3, v8
	v_lshl_add_u64 v[8:9], v[2:3], 3, v[14:15]
	global_load_dwordx2 v[2:3], v[0:1], off
	global_load_dwordx2 v[22:23], v[4:5], off
	;; [unrolled: 1-line block ×4, first 2 shown]
	v_add_u32_e32 v5, 0x110, v62
	v_mad_u64_u32 v[0:1], s[4:5], s18, v5, 0
	v_mov_b32_e32 v4, v1
	v_mad_u64_u32 v[4:5], s[4:5], s19, v5, v[4:5]
	v_add_u32_e32 v7, 0x154, v62
	v_mov_b32_e32 v1, v4
	v_mad_u64_u32 v[4:5], s[4:5], s18, v7, 0
	v_mov_b32_e32 v6, v5
	v_mad_u64_u32 v[6:7], s[4:5], s19, v7, v[6:7]
	v_mov_b32_e32 v5, v6
	v_add_u32_e32 v7, 0x198, v62
	v_lshl_add_u64 v[24:25], v[4:5], 3, v[14:15]
	v_mad_u64_u32 v[4:5], s[4:5], s18, v7, 0
	v_mov_b32_e32 v6, v5
	v_mad_u64_u32 v[6:7], s[4:5], s19, v7, v[6:7]
	v_mov_b32_e32 v5, v6
	v_add_u32_e32 v7, 0x1dc, v62
	v_lshl_add_u64 v[26:27], v[4:5], 3, v[14:15]
	v_mad_u64_u32 v[4:5], s[4:5], s18, v7, 0
	v_mov_b32_e32 v6, v5
	v_mad_u64_u32 v[6:7], s[4:5], s19, v7, v[6:7]
	v_lshl_add_u64 v[0:1], v[0:1], 3, v[14:15]
	v_mov_b32_e32 v5, v6
	v_add_u32_e32 v21, 0x220, v62
	v_lshl_add_u64 v[28:29], v[4:5], 3, v[14:15]
	global_load_dwordx2 v[34:35], v[0:1], off
	global_load_dwordx2 v[8:9], v[24:25], off
	;; [unrolled: 1-line block ×4, first 2 shown]
	v_mad_u64_u32 v[0:1], s[4:5], s18, v21, 0
	v_mov_b32_e32 v24, v1
	v_mad_u64_u32 v[24:25], s[4:5], s19, v21, v[24:25]
	v_add_u32_e32 v21, 0x264, v62
	v_mov_b32_e32 v1, v24
	v_mad_u64_u32 v[24:25], s[4:5], s18, v21, 0
	v_mov_b32_e32 v26, v25
	v_mad_u64_u32 v[26:27], s[4:5], s19, v21, v[26:27]
	v_add_u32_e32 v21, 0x2a8, v62
	v_mov_b32_e32 v25, v26
	v_mad_u64_u32 v[26:27], s[4:5], s18, v21, 0
	v_mov_b32_e32 v28, v27
	v_mad_u64_u32 v[28:29], s[4:5], s19, v21, v[28:29]
	v_mov_b32_e32 v27, v28
	v_add_u32_e32 v21, 0x2ec, v62
	v_lshl_add_u64 v[36:37], v[26:27], 3, v[14:15]
	v_mad_u64_u32 v[26:27], s[4:5], s18, v21, 0
	v_mov_b32_e32 v28, v27
	v_mad_u64_u32 v[28:29], s[4:5], s19, v21, v[28:29]
	v_lshl_add_u64 v[0:1], v[0:1], 3, v[14:15]
	v_mov_b32_e32 v27, v28
	v_add_u32_e32 v21, 0x330, v62
	v_lshl_add_u64 v[24:25], v[24:25], 3, v[14:15]
	v_lshl_add_u64 v[38:39], v[26:27], 3, v[14:15]
	global_load_dwordx2 v[32:33], v[0:1], off
	global_load_dwordx2 v[30:31], v[24:25], off
	;; [unrolled: 1-line block ×4, first 2 shown]
	v_mad_u64_u32 v[0:1], s[4:5], s18, v21, 0
	v_mov_b32_e32 v24, v1
	v_mad_u64_u32 v[24:25], s[4:5], s19, v21, v[24:25]
	v_mov_b32_e32 v1, v24
	v_lshl_add_u64 v[0:1], v[0:1], 3, v[14:15]
	global_load_dwordx2 v[14:15], v[0:1], off
	s_waitcnt vmcnt(11)
	v_mov_b32_e32 v37, v23
	s_waitcnt vmcnt(8)
	v_mov_b32_e32 v36, v35
	v_mov_b32_e32 v35, v22
.LBB0_12:
	s_or_b64 exec, exec, s[0:1]
	s_mov_b32 s0, 0xaaaaaaab
	v_mul_hi_u32 v0, v20, s0
	v_lshrrev_b32_e32 v0, 1, v0
	v_lshl_add_u32 v0, v0, 1, v0
	v_sub_u32_e32 v78, v20, v0
	v_add_f32_e32 v0, v35, v2
	v_add_f32_e32 v0, v10, v0
	s_mov_b32 s4, 0x3df6dbef
	v_add_f32_e32 v44, v12, v0
	s_waitcnt vmcnt(1)
	v_pk_add_f32 v[38:39], v[10:11], v[28:29] neg_lo:[0,1] neg_hi:[0,1]
	v_pk_add_f32 v[0:1], v[10:11], v[28:29]
	s_mov_b32 s5, 0x3f116cb1
	s_mov_b32 s14, 0xbf6f5d39
	v_mov_b32_e32 v24, v39
	v_mov_b32_e32 v25, v0
	s_mov_b32 s18, 0xbf52af12
	s_mov_b32 s19, s5
	;; [unrolled: 1-line block ×3, first 2 shown]
	s_waitcnt vmcnt(0)
	v_pk_add_f32 v[20:21], v[36:37], v[14:15] neg_lo:[0,1] neg_hi:[0,1]
	s_mov_b32 s15, 0xbe750f2a
	v_pk_mul_f32 v[22:23], v[24:25], s[18:19]
	s_mov_b32 s12, 0xbf3f9e67
	s_mov_b32 s20, 0x3f29c268
	s_mov_b32 s24, 0xbeb58ec6
	s_mov_b32 s26, 0x3f7e222b
	v_mov_b32_e32 v45, v14
	s_mov_b32 s34, s14
	s_mov_b32 s35, s23
	v_mov_b32_e32 v41, v22
	s_mov_b32 s13, 0x3f62ad3f
	s_mov_b32 s21, 0x3eedf032
	;; [unrolled: 1-line block ×3, first 2 shown]
	v_pk_add_f32 v[44:45], v[34:35], v[44:45]
	v_pk_mul_f32 v[52:53], v[20:21], s[34:35] op_sel:[1,0]
	s_mov_b32 s36, s20
	s_mov_b32 s37, s26
	;; [unrolled: 1-line block ×4, first 2 shown]
	v_pk_fma_f32 v[24:25], v[24:25], s[18:19], v[40:41]
	v_pk_add_f32 v[42:43], v[12:13], v[26:27] neg_lo:[0,1] neg_hi:[0,1]
	s_mov_b32 s19, 0xbf7e222b
	v_mov_b32_e32 v46, v34
	v_mov_b32_e32 v47, v36
	s_mov_b32 s28, s12
	s_mov_b32 s29, s4
	v_pk_mul_f32 v[66:67], v[38:39], s[36:37] op_sel:[1,0]
	s_mov_b32 s38, s21
	s_mov_b32 s39, s18
	v_pk_fma_f32 v[50:51], v[44:45], s[40:41], v[52:53] op_sel:[1,0,0] neg_lo:[0,0,1] neg_hi:[0,0,1]
	v_pk_add_f32 v[40:41], v[12:13], v[26:27]
	s_mov_b32 s30, s13
	s_mov_b32 s31, s5
	v_pk_mul_f32 v[68:69], v[42:43], s[38:39] op_sel:[1,0]
	v_pk_fma_f32 v[48:49], v[0:1], s[28:29], v[66:67] op_sel_hi:[0,1,1] neg_lo:[0,0,1] neg_hi:[0,0,1]
	v_pk_add_f32 v[50:51], v[50:51], v[2:3] op_sel_hi:[1,0]
	v_pk_add_f32 v[56:57], v[46:47], v[30:31] neg_lo:[0,1] neg_hi:[0,1]
	s_mov_b32 s49, 0x3e750f2a
	s_mov_b32 s48, s19
	v_pk_add_f32 v[48:49], v[48:49], v[50:51]
	v_pk_fma_f32 v[50:51], v[40:41], s[30:31], v[68:69] op_sel_hi:[0,1,1] neg_lo:[0,0,1] neg_hi:[0,0,1]
	v_pk_add_f32 v[46:47], v[46:47], v[30:31]
	s_mov_b32 s42, s4
	s_mov_b32 s43, s25
	v_pk_mul_f32 v[70:71], v[56:57], s[48:49] op_sel:[1,0]
	v_pk_add_f32 v[48:49], v[50:51], v[48:49]
	v_pk_fma_f32 v[50:51], v[46:47], s[42:43], v[70:71] op_sel_hi:[0,1,1] neg_lo:[0,0,1] neg_hi:[0,0,1]
	s_mov_b32 s50, s49
	s_mov_b32 s51, s21
	v_pk_add_f32 v[58:59], v[8:9], v[32:33] neg_lo:[0,1] neg_hi:[0,1]
	v_pk_add_f32 v[50:51], v[50:51], v[48:49]
	s_mov_b32 s44, s25
	s_mov_b32 s45, s13
	v_pk_add_f32 v[48:49], v[8:9], v[32:33]
	v_pk_mul_f32 v[72:73], v[58:59], s[50:51] op_sel:[1,0]
	s_mov_b32 s52, 0x3f52af12
	v_pk_fma_f32 v[54:55], v[48:49], s[44:45], v[72:73] op_sel_hi:[0,1,1] neg_lo:[0,0,1] neg_hi:[0,0,1]
	v_pk_add_f32 v[60:61], v[54:55], v[50:51]
	s_mov_b32 s53, s14
	v_pk_add_f32 v[50:51], v[6:7], v[4:5] neg_lo:[0,1] neg_hi:[0,1]
	s_mov_b32 s46, s5
	s_mov_b32 s47, s24
	v_pk_add_f32 v[54:55], v[6:7], v[4:5]
	v_pk_mul_f32 v[74:75], v[50:51], s[52:53] op_sel:[1,0]
	v_mul_u32_u24_e32 v110, 0x374, v78
	v_pk_fma_f32 v[76:77], v[54:55], s[46:47], v[74:75] op_sel_hi:[0,1,1] neg_lo:[0,0,1] neg_hi:[0,0,1]
	v_lshl_add_u32 v111, v110, 2, 0
	v_pk_add_f32 v[60:61], v[76:77], v[60:61]
	v_mad_u32_u24 v10, v62, 52, v111
	s_mov_b32 s54, s5
	s_mov_b32 s55, s4
	v_pk_mul_f32 v[76:77], v[20:21], s[18:19] op_sel:[1,0]
	ds_write2_b32 v10, v61, v60 offset0:8 offset1:9
	v_pk_fma_f32 v[60:61], v[44:45], s[54:55], v[76:77] op_sel:[1,0,0] neg_lo:[0,0,1] neg_hi:[0,0,1]
	v_pk_mul_f32 v[78:79], v[38:39], s[14:15] op_sel:[1,0]
	v_pk_add_f32 v[60:61], v[60:61], v[2:3] op_sel_hi:[1,0]
	v_pk_fma_f32 v[80:81], v[0:1], s[24:25], v[78:79] op_sel_hi:[0,1,1] neg_lo:[0,0,1] neg_hi:[0,0,1]
	s_mov_b32 s61, 0x3f6f5d39
	s_mov_b32 s60, s15
	v_pk_add_f32 v[60:61], v[80:81], v[60:61]
	s_mov_b32 s56, s25
	s_mov_b32 s57, s24
	v_pk_mul_f32 v[80:81], v[42:43], s[60:61] op_sel:[1,0]
	s_mov_b32 s27, s18
	v_pk_fma_f32 v[82:83], v[40:41], s[56:57], v[80:81] op_sel_hi:[0,1,1] neg_lo:[0,0,1] neg_hi:[0,0,1]
	v_pk_add_f32 v[60:61], v[82:83], v[60:61]
	v_pk_mul_f32 v[82:83], v[56:57], s[20:21] op_sel:[1,0]
	s_mov_b32 s22, s21
	v_pk_fma_f32 v[84:85], v[46:47], s[12:13], v[82:83] op_sel_hi:[0,1,1] neg_lo:[0,0,1] neg_hi:[0,0,1]
	v_pk_add_f32 v[60:61], v[84:85], v[60:61]
	v_pk_mul_f32 v[84:85], v[58:59], s[26:27] op_sel:[1,0]
	s_mov_b32 s58, s13
	v_pk_fma_f32 v[86:87], v[48:49], s[4:5], v[84:85] op_sel_hi:[0,1,1] neg_lo:[0,0,1] neg_hi:[0,0,1]
	v_pk_add_f32 v[60:61], v[86:87], v[60:61]
	s_mov_b32 s59, s12
	v_pk_mul_f32 v[86:87], v[50:51], s[22:23] op_sel:[1,0]
	s_mov_b32 s0, s19
	v_pk_fma_f32 v[88:89], v[54:55], s[58:59], v[86:87] op_sel_hi:[0,1,1] neg_lo:[0,0,1] neg_hi:[0,0,1]
	v_pk_add_f32 v[60:61], v[88:89], v[60:61]
	ds_write2_b32 v10, v61, v60 offset0:10 offset1:11
	v_mov_b32_e32 v60, v43
	v_mov_b32_e32 v61, v40
	s_mov_b32 s1, s4
	v_pk_mul_f32 v[88:89], v[60:61], s[0:1]
	v_pk_add_f32 v[104:105], v[8:9], v[44:45]
	v_mov_b32_e32 v91, v88
	v_pk_fma_f32 v[90:91], v[60:61], s[0:1], v[90:91]
	v_mov_b32_e32 v60, v57
	v_mov_b32_e32 v61, v46
	s_mov_b32 s0, s14
	s_mov_b32 s1, s24
	v_pk_mul_f32 v[92:93], v[60:61], s[0:1]
	v_mul_f32_e32 v109, 0xbeedf032, v21
	v_mov_b32_e32 v95, v92
	v_pk_fma_f32 v[94:95], v[60:61], s[0:1], v[94:95]
	v_mov_b32_e32 v60, v59
	v_mov_b32_e32 v61, v48
	s_mov_b32 s0, s23
	s_mov_b32 s1, s12
	v_pk_mul_f32 v[96:97], v[60:61], s[0:1]
	v_mov_b32_e32 v108, v6
	v_mov_b32_e32 v99, v96
	v_pk_fma_f32 v[98:99], v[60:61], s[0:1], v[98:99]
	v_mov_b32_e32 v60, v51
	v_mov_b32_e32 v61, v54
	s_mov_b32 s0, s15
	s_mov_b32 s1, s25
	v_pk_mul_f32 v[100:101], v[60:61], s[0:1]
	v_mov_b32_e32 v24, v32
	v_mov_b32_e32 v103, v100
	v_pk_fma_f32 v[102:103], v[60:61], s[0:1], v[102:103]
	v_mov_b32_e32 v61, 0x3f62ad3f
	v_mov_b32_e32 v60, v8
	v_pk_mul_f32 v[106:107], v[60:61], v[44:45]
	v_mov_b32_e32 v90, v30
	v_mov_b32_e32 v105, v107
	v_pk_add_f32 v[104:105], v[108:109], v[104:105]
	v_mov_b32_e32 v108, v4
	v_mov_b32_e32 v109, v2
	v_pk_add_f32 v[104:105], v[108:109], v[104:105]
	v_mov_b32_e32 v94, v26
	v_pk_add_f32 v[24:25], v[24:25], v[104:105]
	;; [unrolled: 2-line block ×4, first 2 shown]
	v_pk_fma_f32 v[76:77], v[44:45], s[54:55], v[76:77] op_sel:[1,0,0]
	v_pk_add_f32 v[24:25], v[98:99], v[24:25]
	v_pk_add_f32 v[76:77], v[76:77], v[2:3] op_sel_hi:[1,0]
	v_pk_add_f32 v[24:25], v[102:103], v[24:25]
	ds_write2_b32 v10, v24, v25 offset1:1
	v_pk_fma_f32 v[24:25], v[0:1], s[24:25], v[78:79] op_sel_hi:[0,1,1]
	v_pk_add_f32 v[24:25], v[24:25], v[76:77]
	v_pk_fma_f32 v[76:77], v[40:41], s[56:57], v[80:81] op_sel_hi:[0,1,1]
	v_pk_add_f32 v[24:25], v[76:77], v[24:25]
	;; [unrolled: 2-line block ×5, first 2 shown]
	v_pk_fma_f32 v[52:53], v[44:45], s[40:41], v[52:53] op_sel:[1,0,0]
	ds_write2_b32 v10, v24, v25 offset0:2 offset1:3
	v_pk_fma_f32 v[24:25], v[0:1], s[28:29], v[66:67] op_sel_hi:[0,1,1]
	v_pk_add_f32 v[52:53], v[52:53], v[2:3] op_sel_hi:[1,0]
	v_mul_f32_e32 v4, 0x3f62ad3f, v0
	v_pk_add_f32 v[24:25], v[24:25], v[52:53]
	v_pk_fma_f32 v[52:53], v[40:41], s[30:31], v[68:69] op_sel_hi:[0,1,1]
	v_pk_add_f32 v[24:25], v[52:53], v[24:25]
	v_pk_fma_f32 v[52:53], v[46:47], s[42:43], v[70:71] op_sel_hi:[0,1,1]
	;; [unrolled: 2-line block ×4, first 2 shown]
	v_pk_add_f32 v[24:25], v[52:53], v[24:25]
	v_mul_f32_e32 v6, 0x3eedf032, v39
	ds_write2_b32 v10, v24, v25 offset0:4 offset1:5
	v_pk_add_f32 v[24:25], v[4:5], v[6:7]
	v_pk_add_f32 v[52:53], v[4:5], v[6:7] neg_lo:[0,1] neg_hi:[0,1]
	v_mul_f32_e32 v4, 0xbf3f9e67, v40
	v_mul_f32_e32 v6, 0xbf29c268, v43
	v_mov_b32_e32 v25, v52
	v_pk_add_f32 v[52:53], v[4:5], v[6:7]
	v_pk_add_f32 v[66:67], v[4:5], v[6:7] neg_lo:[0,1] neg_hi:[0,1]
	v_mul_f32_e32 v4, 0x3f116cb1, v46
	v_mul_f32_e32 v6, 0x3f52af12, v57
	v_mov_b32_e32 v53, v66
	;; [unrolled: 5-line block ×4, first 2 shown]
	v_pk_add_f32 v[70:71], v[4:5], v[6:7]
	v_pk_add_f32 v[72:73], v[4:5], v[6:7] neg_lo:[0,1] neg_hi:[0,1]
	v_mul_f32_e32 v4, 0xbe750f2a, v21
	v_mul_f32_e32 v6, 0xbf788fa5, v45
	v_fmac_f32_e32 v107, 0x3eedf032, v21
	v_pk_add_f32 v[20:21], v[6:7], v[4:5]
	v_pk_add_f32 v[44:45], v[6:7], v[4:5] neg_lo:[0,1] neg_hi:[0,1]
	v_sub_f32_e32 v4, v23, v22
	v_mov_b32_e32 v21, v44
	v_pk_add_f32 v[20:21], v[20:21], v[2:3] op_sel_hi:[1,0]
	v_add_f32_e32 v23, v107, v2
	v_pk_add_f32 v[20:21], v[24:25], v[20:21]
	v_sub_f32_e32 v6, v89, v88
	v_pk_add_f32 v[20:21], v[52:53], v[20:21]
	v_add_f32_e32 v4, v4, v23
	v_pk_add_f32 v[20:21], v[66:67], v[20:21]
	v_sub_f32_e32 v8, v93, v92
	v_add_f32_e32 v4, v6, v4
	s_movk_i32 s0, 0xffd0
	v_mov_b32_e32 v71, v72
	v_pk_add_f32 v[20:21], v[68:69], v[20:21]
	v_sub_f32_e32 v12, v97, v96
	v_add_f32_e32 v4, v8, v4
	v_mad_i32_i24 v66, v62, s0, v10
	v_pk_add_f32 v[20:21], v[70:71], v[20:21]
	v_sub_f32_e32 v22, v101, v100
	v_add_f32_e32 v4, v12, v4
	v_add_u32_e32 v12, 0x200, v66
	s_load_dwordx2 s[10:11], s[2:3], 0x0
	v_add_f32_e32 v34, v22, v4
	ds_write2_b32 v10, v20, v21 offset0:6 offset1:7
	ds_write_b32 v10, v34 offset:48
	s_waitcnt lgkmcnt(0)
	s_barrier
	v_lshl_add_u32 v67, v62, 2, v111
	v_lshl_add_u32 v6, v65, 2, v111
	;; [unrolled: 1-line block ×3, first 2 shown]
	v_add_u32_e32 v69, 0x400, v66
	v_add_u32_e32 v70, 0x800, v66
	;; [unrolled: 1-line block ×3, first 2 shown]
	ds_read2_b32 v[52:53], v12 offset0:93 offset1:161
	ds_read2_b32 v[22:23], v69 offset0:101 offset1:186
	;; [unrolled: 1-line block ×3, first 2 shown]
	ds_read_b32 v28, v6
	ds_read2_b32 v[20:21], v8 offset0:126 offset1:194
	ds_read_b32 v71, v66 offset:3196
	ds_read_b32 v30, v67
	ds_read_b32 v26, v4
	v_cmp_lt_u32_e64 s[0:1], 16, v62
	v_cmp_gt_u32_e64 s[2:3], 17, v62
	v_lshlrev_b32_e32 v68, 2, v110
	v_lshlrev_b32_e32 v73, 2, v63
                                        ; implicit-def: $vgpr72
                                        ; implicit-def: $vgpr24
	s_and_saveexec_b64 s[62:63], s[2:3]
	s_cbranch_execz .LBB0_14
; %bb.13:
	v_add_u32_e32 v24, 0x680, v66
	v_add3_u32 v32, 0, v73, v68
	ds_read2_b32 v[24:25], v24 offset0:9 offset1:230
	ds_read_b32 v34, v32
	ds_read_b32 v72, v66 offset:3468
.LBB0_14:
	s_or_b64 exec, exec, s[62:63]
	v_add_f32_e32 v32, v37, v3
	v_mov_b32_e32 v80, v1
	v_mov_b32_e32 v81, v38
	s_mov_b32 s62, s5
	s_mov_b32 s63, s18
	v_add_f32_e32 v11, v11, v32
	v_pk_mul_f32 v[82:83], v[80:81], s[62:63]
	v_add_f32_e32 v74, v13, v11
	v_mov_b32_e32 v11, v82
	v_pk_fma_f32 v[80:81], v[80:81], s[62:63], v[10:11] neg_lo:[1,0,0] neg_hi:[1,0,0]
	v_mov_b32_e32 v84, v41
	v_mov_b32_e32 v85, v42
	s_mov_b32 s62, s4
	s_mov_b32 s63, s19
	v_pk_mul_f32 v[86:87], v[84:85], s[62:63]
	v_mov_b32_e32 v32, v35
	v_mov_b32_e32 v11, v86
	;; [unrolled: 1-line block ×3, first 2 shown]
	v_pk_add_f32 v[76:77], v[32:33], v[14:15] neg_lo:[0,1] neg_hi:[0,1]
	v_pk_fma_f32 v[84:85], v[84:85], s[62:63], v[10:11] neg_lo:[1,0,0] neg_hi:[1,0,0]
	v_mov_b32_e32 v90, v47
	v_mov_b32_e32 v91, v56
	s_mov_b32 s62, s24
	s_mov_b32 s63, s14
	v_pk_add_f32 v[36:37], v[36:37], v[74:75]
	v_mov_b32_e32 v60, v9
	v_mul_f32_e32 v79, 0xbeedf032, v76
	v_pk_mul_f32 v[92:93], v[90:91], s[62:63]
	v_pk_add_f32 v[74:75], v[60:61], v[36:37]
	v_mov_b32_e32 v78, v7
	v_mov_b32_e32 v11, v92
	v_pk_mul_f32 v[100:101], v[60:61], v[36:37]
	v_pk_add_f32 v[74:75], v[74:75], v[78:79]
	v_pk_fma_f32 v[60:61], v[60:61], v[36:37], v[78:79] neg_lo:[0,0,1] neg_hi:[0,0,1]
	v_pk_fma_f32 v[90:91], v[90:91], s[62:63], v[10:11] neg_lo:[1,0,0] neg_hi:[1,0,0]
	v_mov_b32_e32 v96, v49
	v_mov_b32_e32 v97, v58
	s_mov_b32 s62, s12
	s_mov_b32 s63, s23
	v_mov_b32_e32 v75, v61
	v_mov_b32_e32 v60, v5
	;; [unrolled: 1-line block ×3, first 2 shown]
	v_fmac_f32_e32 v101, 0xbeedf032, v76
	v_add_f32_e32 v13, v82, v83
	v_pk_mul_f32 v[98:99], v[96:97], s[62:63]
	v_pk_add_f32 v[60:61], v[60:61], v[74:75]
	v_mov_b32_e32 v80, v33
	v_add_f32_e32 v5, v101, v3
	v_add_f32_e32 v35, v86, v87
	v_mov_b32_e32 v11, v98
	v_pk_add_f32 v[60:61], v[80:81], v[60:61]
	v_mov_b32_e32 v84, v31
	v_add_f32_e32 v5, v13, v5
	v_add_f32_e32 v83, v92, v93
	v_pk_fma_f32 v[96:97], v[96:97], s[62:63], v[10:11] neg_lo:[1,0,0] neg_hi:[1,0,0]
	v_pk_add_f32 v[60:61], v[84:85], v[60:61]
	v_mov_b32_e32 v90, v27
	v_add_f32_e32 v5, v35, v5
	v_mov_b32_e32 v84, v55
	v_mov_b32_e32 v85, v50
	s_mov_b32 s62, s25
	s_mov_b32 s63, s15
	v_pk_add_f32 v[60:61], v[90:91], v[60:61]
	v_add_f32_e32 v5, v83, v5
	v_add_f32_e32 v7, v98, v99
	v_pk_mul_f32 v[90:91], v[84:85], s[62:63]
	v_add_f32_e32 v7, v7, v5
	v_mov_b32_e32 v5, v90
	v_mov_b32_e32 v96, v29
	v_pk_fma_f32 v[84:85], v[84:85], s[62:63], v[4:5] neg_lo:[1,0,0] neg_hi:[1,0,0]
	v_add_f32_e32 v5, v90, v91
	v_pk_mul_f32 v[90:91], v[76:77], s[18:19] op_sel_hi:[0,1]
	v_pk_add_f32 v[60:61], v[96:97], v[60:61]
	v_pk_mul_f32 v[96:97], v[38:39], s[14:15] op_sel_hi:[0,1]
	v_pk_fma_f32 v[108:109], v[36:37], s[54:55], v[90:91] op_sel:[1,0,0] neg_lo:[0,0,1] neg_hi:[0,0,1]
	v_pk_fma_f32 v[98:99], v[0:1], s[24:25], v[96:97] op_sel:[1,0,0] neg_lo:[0,0,1] neg_hi:[0,0,1]
	v_pk_mul_f32 v[100:101], v[42:43], s[60:61] op_sel_hi:[0,1]
	v_pk_add_f32 v[108:109], v[108:109], v[2:3] op_sel:[0,1]
	v_pk_fma_f32 v[90:91], v[36:37], s[54:55], v[90:91] op_sel:[1,0,0]
	v_pk_fma_f32 v[102:103], v[40:41], s[56:57], v[100:101] op_sel:[1,0,0] neg_lo:[0,0,1] neg_hi:[0,0,1]
	v_pk_mul_f32 v[104:105], v[56:57], s[20:21] op_sel_hi:[0,1]
	v_pk_add_f32 v[98:99], v[98:99], v[108:109]
	v_pk_fma_f32 v[96:97], v[0:1], s[24:25], v[96:97] op_sel:[1,0,0]
	v_pk_add_f32 v[90:91], v[90:91], v[2:3] op_sel:[0,1]
	v_pk_fma_f32 v[106:107], v[46:47], s[12:13], v[104:105] op_sel:[1,0,0] neg_lo:[0,0,1] neg_hi:[0,0,1]
	v_pk_add_f32 v[98:99], v[102:103], v[98:99]
	v_pk_mul_f32 v[102:103], v[58:59], s[26:27] op_sel_hi:[0,1]
	v_pk_fma_f32 v[100:101], v[40:41], s[56:57], v[100:101] op_sel:[1,0,0]
	v_pk_add_f32 v[90:91], v[96:97], v[90:91]
	v_pk_add_f32 v[98:99], v[106:107], v[98:99]
	v_pk_fma_f32 v[106:107], v[48:49], s[4:5], v[102:103] op_sel:[1,0,0] neg_lo:[0,0,1] neg_hi:[0,0,1]
	v_pk_fma_f32 v[104:105], v[46:47], s[12:13], v[104:105] op_sel:[1,0,0]
	v_pk_add_f32 v[90:91], v[100:101], v[90:91]
	v_mul_f32_e32 v14, 0xbe750f2a, v76
	v_pk_add_f32 v[98:99], v[106:107], v[98:99]
	v_pk_mul_f32 v[106:107], v[50:51], s[22:23] op_sel_hi:[0,1]
	v_pk_add_f32 v[90:91], v[104:105], v[90:91]
	v_pk_fma_f32 v[96:97], v[48:49], s[4:5], v[102:103] op_sel:[1,0,0]
	v_pk_mul_f32 v[76:77], v[76:77], s[34:35] op_sel_hi:[0,1]
	v_mul_f32_e32 v82, 0x3eedf032, v38
	v_mul_f32_e32 v74, 0xbf788fa5, v37
	v_pk_add_f32 v[90:91], v[96:97], v[90:91]
	v_pk_fma_f32 v[96:97], v[54:55], s[58:59], v[106:107] op_sel:[1,0,0]
	v_pk_mul_f32 v[38:39], v[38:39], s[36:37] op_sel_hi:[0,1]
	v_pk_fma_f32 v[104:105], v[36:37], s[40:41], v[76:77] op_sel:[1,0,0] neg_lo:[0,0,1] neg_hi:[0,0,1]
	v_pk_fma_f32 v[36:37], v[36:37], s[40:41], v[76:77] op_sel:[1,0,0]
	v_mul_f32_e32 v32, 0x3f62ad3f, v1
	v_mul_f32_e32 v88, 0xbf29c268, v42
	v_pk_add_f32 v[90:91], v[96:97], v[90:91]
	v_pk_fma_f32 v[96:97], v[0:1], s[28:29], v[38:39] op_sel:[1,0,0] neg_lo:[0,0,1] neg_hi:[0,0,1]
	v_pk_mul_f32 v[42:43], v[42:43], s[38:39] op_sel_hi:[0,1]
	v_pk_fma_f32 v[0:1], v[0:1], s[28:29], v[38:39] op_sel:[1,0,0]
	v_pk_add_f32 v[36:37], v[36:37], v[2:3] op_sel:[0,1]
	v_mul_f32_e32 v94, 0x3f52af12, v56
	v_pk_mul_f32 v[56:57], v[56:57], s[48:49] op_sel_hi:[0,1]
	v_pk_fma_f32 v[38:39], v[40:41], s[30:31], v[42:43] op_sel:[1,0,0]
	v_pk_add_f32 v[0:1], v[0:1], v[36:37]
	v_mul_f32_e32 v86, 0xbf3f9e67, v41
	v_pk_fma_f32 v[100:101], v[40:41], s[30:31], v[42:43] op_sel:[1,0,0] neg_lo:[0,0,1] neg_hi:[0,0,1]
	v_pk_fma_f32 v[40:41], v[46:47], s[42:43], v[56:57] op_sel:[1,0,0]
	v_pk_add_f32 v[0:1], v[38:39], v[0:1]
	v_mul_f32_e32 v92, 0x3f116cb1, v47
	v_pk_add_f32 v[0:1], v[40:41], v[0:1]
	v_pk_add_f32 v[40:41], v[32:33], v[82:83] neg_lo:[0,1] neg_hi:[0,1]
	v_pk_add_f32 v[32:33], v[32:33], v[82:83]
	v_pk_add_f32 v[42:43], v[86:87], v[88:89]
	v_mov_b32_e32 v41, v32
	v_pk_add_f32 v[32:33], v[86:87], v[88:89] neg_lo:[0,1] neg_hi:[0,1]
	v_pk_fma_f32 v[102:103], v[46:47], s[42:43], v[56:57] op_sel:[1,0,0] neg_lo:[0,0,1] neg_hi:[0,0,1]
	v_pk_add_f32 v[104:105], v[104:105], v[2:3] op_sel:[0,1]
	v_mov_b32_e32 v33, v42
	v_pk_add_f32 v[42:43], v[92:93], v[94:95] neg_lo:[0,1] neg_hi:[0,1]
	v_pk_add_f32 v[46:47], v[92:93], v[94:95]
	v_mov_b32_e32 v84, v15
	v_pk_add_f32 v[96:97], v[96:97], v[104:105]
	v_mov_b32_e32 v43, v46
	v_pk_add_f32 v[46:47], v[74:75], v[14:15] neg_lo:[0,1] neg_hi:[0,1]
	v_pk_add_f32 v[14:15], v[74:75], v[14:15]
	v_mul_f32_e32 v80, 0xbf6f5d39, v58
	v_pk_add_f32 v[96:97], v[100:101], v[96:97]
	v_pk_mul_f32 v[58:59], v[58:59], s[50:51] op_sel_hi:[0,1]
	v_mov_b32_e32 v47, v14
	v_pk_add_f32 v[96:97], v[102:103], v[96:97]
	v_pk_fma_f32 v[100:101], v[48:49], s[44:45], v[58:59] op_sel:[1,0,0] neg_lo:[0,0,1] neg_hi:[0,0,1]
	v_pk_add_f32 v[2:3], v[46:47], v[2:3] op_sel:[0,1]
	v_mul_f32_e32 v78, 0xbeb58ec6, v49
	v_pk_add_f32 v[96:97], v[100:101], v[96:97]
	v_pk_mul_f32 v[100:101], v[50:51], s[52:53] op_sel_hi:[0,1]
	v_pk_fma_f32 v[36:37], v[48:49], s[44:45], v[58:59] op_sel:[1,0,0]
	v_pk_add_f32 v[2:3], v[40:41], v[2:3]
	v_pk_add_f32 v[0:1], v[36:37], v[0:1]
	v_pk_fma_f32 v[36:37], v[54:55], s[46:47], v[100:101] op_sel:[1,0,0]
	v_pk_add_f32 v[2:3], v[32:33], v[2:3]
	v_pk_add_f32 v[14:15], v[78:79], v[80:81] neg_lo:[0,1] neg_hi:[0,1]
	v_pk_add_f32 v[32:33], v[78:79], v[80:81]
	v_pk_add_f32 v[0:1], v[36:37], v[0:1]
	v_mul_f32_e32 v36, 0x3df6dbef, v55
	v_mul_f32_e32 v38, 0x3f7e222b, v50
	v_pk_add_f32 v[2:3], v[42:43], v[2:3]
	v_mov_b32_e32 v15, v32
	v_pk_add_f32 v[2:3], v[14:15], v[2:3]
	v_pk_add_f32 v[14:15], v[36:37], v[38:39] neg_lo:[0,1] neg_hi:[0,1]
	v_pk_add_f32 v[32:33], v[36:37], v[38:39]
	v_pk_add_f32 v[84:85], v[84:85], v[60:61]
	v_pk_fma_f32 v[108:109], v[54:55], s[58:59], v[106:107] op_sel:[1,0,0] neg_lo:[0,0,1] neg_hi:[0,0,1]
	v_pk_fma_f32 v[102:103], v[54:55], s[46:47], v[100:101] op_sel:[1,0,0] neg_lo:[0,0,1] neg_hi:[0,0,1]
	v_mov_b32_e32 v15, v32
	v_add_f32_e32 v60, v5, v7
	v_pk_add_f32 v[98:99], v[108:109], v[98:99]
	v_pk_add_f32 v[96:97], v[102:103], v[96:97]
	;; [unrolled: 1-line block ×3, first 2 shown]
	s_waitcnt lgkmcnt(0)
	s_barrier
	ds_write2_b32 v10, v84, v85 offset1:1
	ds_write2_b32 v10, v98, v99 offset0:2 offset1:3
	ds_write2_b32 v10, v96, v97 offset0:4 offset1:5
	;; [unrolled: 1-line block ×5, first 2 shown]
	ds_write_b32 v10, v60 offset:48
	s_waitcnt lgkmcnt(0)
	s_barrier
	ds_read2_b32 v[32:33], v12 offset0:93 offset1:161
	ds_read2_b32 v[48:49], v69 offset0:101 offset1:186
	;; [unrolled: 1-line block ×3, first 2 shown]
	ds_read_b32 v69, v6
	ds_read2_b32 v[46:47], v8 offset0:126 offset1:194
	ds_read_b32 v27, v66 offset:3196
	ds_read_b32 v70, v67
	ds_read_b32 v61, v4
                                        ; implicit-def: $vgpr50
                                        ; implicit-def: $vgpr35
	s_and_saveexec_b64 s[4:5], s[2:3]
	s_cbranch_execz .LBB0_16
; %bb.15:
	v_add_u32_e32 v1, 0x680, v66
	v_add3_u32 v0, 0, v73, v68
	ds_read2_b32 v[50:51], v1 offset0:9 offset1:230
	ds_read_b32 v60, v0
	ds_read_b32 v35, v66 offset:3468
.LBB0_16:
	s_or_b64 exec, exec, s[4:5]
	s_movk_i32 s2, 0x4f
	v_mul_lo_u16_sdwa v0, v62, s2 dst_sel:DWORD dst_unused:UNUSED_PAD src0_sel:BYTE_0 src1_sel:DWORD
	v_lshrrev_b16_e32 v43, 10, v0
	v_mul_lo_u16_e32 v0, 13, v43
	v_sub_u16_e32 v84, v62, v0
	v_mov_b32_e32 v8, 3
	v_mul_u32_u24_sdwa v0, v84, v8 dst_sel:DWORD dst_unused:UNUSED_PAD src0_sel:BYTE_0 src1_sel:DWORD
	v_lshlrev_b32_e32 v4, 3, v0
	global_load_dwordx2 v[38:39], v4, s[8:9] offset:16
	global_load_dwordx4 v[0:3], v4, s[8:9]
	v_mul_lo_u16_sdwa v4, v65, s2 dst_sel:DWORD dst_unused:UNUSED_PAD src0_sel:BYTE_0 src1_sel:DWORD
	v_lshrrev_b16_e32 v85, 10, v4
	v_mul_lo_u16_e32 v4, 13, v85
	v_sub_u16_e32 v86, v65, v4
	v_mul_u32_u24_sdwa v4, v86, v8 dst_sel:DWORD dst_unused:UNUSED_PAD src0_sel:BYTE_0 src1_sel:DWORD
	v_lshlrev_b32_e32 v9, 3, v4
	global_load_dwordx2 v[40:41], v9, s[8:9] offset:16
	global_load_dwordx4 v[4:7], v9, s[8:9]
	v_mul_lo_u16_sdwa v9, v64, s2 dst_sel:DWORD dst_unused:UNUSED_PAD src0_sel:BYTE_0 src1_sel:DWORD
	v_lshrrev_b16_e32 v87, 10, v9
	v_mul_lo_u16_e32 v9, 13, v87
	v_sub_u16_e32 v88, v64, v9
	v_mul_u32_u24_sdwa v8, v88, v8 dst_sel:DWORD dst_unused:UNUSED_PAD src0_sel:BYTE_0 src1_sel:DWORD
	v_lshlrev_b32_e32 v12, 3, v8
	s_movk_i32 s2, 0x4ec5
	global_load_dwordx2 v[54:55], v12, s[8:9] offset:16
	global_load_dwordx4 v[8:11], v12, s[8:9]
	v_mul_u32_u24_sdwa v12, v63, s2 dst_sel:DWORD dst_unused:UNUSED_PAD src0_sel:WORD_0 src1_sel:DWORD
	v_lshrrev_b32_e32 v12, 18, v12
	v_mul_lo_u16_e32 v12, 13, v12
	v_sub_u16_e32 v42, v63, v12
	v_mul_u32_u24_e32 v12, 3, v42
	v_lshlrev_b32_e32 v29, 3, v12
	global_load_dwordx4 v[12:15], v29, s[8:9]
	global_load_dwordx2 v[56:57], v29, s[8:9] offset:16
	v_add_f32_e32 v58, v30, v30
	v_add_f32_e32 v64, v28, v28
	s_movk_i32 s2, 0xd0
	s_waitcnt lgkmcnt(0)
	s_barrier
	s_waitcnt vmcnt(7)
	v_mul_f32_e32 v31, v36, v38
	s_waitcnt vmcnt(6)
	v_mul_f32_e32 v74, v49, v3
	v_mul_f32_e32 v73, v32, v1
	;; [unrolled: 1-line block ×5, first 2 shown]
	v_fmac_f32_e32 v74, v23, v2
	s_waitcnt vmcnt(5)
	v_mul_f32_e32 v29, v37, v40
	s_waitcnt vmcnt(4)
	v_mul_f32_e32 v36, v46, v7
	v_mul_f32_e32 v39, v33, v5
	;; [unrolled: 1-line block ×5, first 2 shown]
	v_fma_f32 v59, v32, v0, -v59
	v_fmac_f32_e32 v36, v20, v6
	v_pk_add_f32 v[30:31], v[30:31], v[74:75] neg_lo:[0,1] neg_hi:[0,1]
	v_fma_f32 v65, v33, v4, -v65
	v_pk_add_f32 v[36:37], v[28:29], v[36:37] neg_lo:[0,1] neg_hi:[0,1]
	s_waitcnt vmcnt(2)
	v_mul_f32_e32 v41, v48, v9
	v_mul_f32_e32 v78, v22, v9
	;; [unrolled: 1-line block ×5, first 2 shown]
	s_waitcnt vmcnt(0)
	v_mul_f32_e32 v83, v35, v57
	v_mul_f32_e32 v35, v35, v56
	;; [unrolled: 1-line block ×3, first 2 shown]
	v_fmac_f32_e32 v83, v72, v56
	v_pk_add_f32 v[56:57], v[58:59], v[30:31] neg_lo:[0,1] neg_hi:[0,1]
	v_mul_f32_e32 v55, v24, v13
	v_fmac_f32_e32 v73, v52, v0
	v_fmac_f32_e32 v1, v44, v38
	v_add_f32_e32 v72, v59, v59
	v_pk_add_f32 v[58:59], v[64:65], v[36:37] neg_lo:[0,1] neg_hi:[0,1]
	v_mov_b32_e32 v0, v57
	v_mul_f32_e32 v27, v27, v54
	v_mul_f32_e32 v79, v50, v13
	v_fmac_f32_e32 v39, v53, v4
	v_fmac_f32_e32 v5, v45, v40
	;; [unrolled: 1-line block ×4, first 2 shown]
	v_fma_f32 v45, v50, v12, -v55
	v_add_f32_e32 v38, v65, v65
	v_mov_b32_e32 v4, v59
	v_pk_add_f32 v[54:55], v[72:73], v[0:1] neg_lo:[0,1] neg_hi:[0,1]
	v_fma_f32 v13, v48, v8, -v78
	v_fmac_f32_e32 v79, v24, v12
	v_mov_b32_e32 v29, v30
	v_pk_add_f32 v[52:53], v[38:39], v[4:5] neg_lo:[0,1] neg_hi:[0,1]
	v_fma_f32 v28, v73, 2.0, -v55
	v_add_f32_e32 v12, v26, v26
	v_pk_add_f32 v[26:27], v[26:27], v[76:77] neg_lo:[0,1] neg_hi:[0,1]
	v_mov_b32_e32 v65, v36
	v_fma_f32 v64, v39, 2.0, -v53
	v_pk_add_f32 v[4:5], v[56:57], v[28:29]
	v_pk_add_f32 v[38:39], v[12:13], v[26:27] neg_lo:[0,1] neg_hi:[0,1]
	v_mul_f32_e32 v80, v51, v15
	v_fmac_f32_e32 v41, v22, v8
	v_pk_add_f32 v[32:33], v[56:57], v[28:29] neg_lo:[0,1] neg_hi:[0,1]
	v_pk_add_f32 v[28:29], v[58:59], v[64:65] neg_lo:[0,1] neg_hi:[0,1]
	v_fma_f32 v4, v30, 2.0, -v5
	v_pk_add_f32 v[30:31], v[58:59], v[64:65]
	v_add_f32_e32 v40, v13, v13
	v_mov_b32_e32 v8, v39
	v_fmac_f32_e32 v80, v25, v14
	v_fma_f32 v0, v56, 2.0, -v32
	v_mov_b32_e32 v29, v31
	v_mov_b32_e32 v59, v36
	v_pk_add_f32 v[56:57], v[40:41], v[8:9] neg_lo:[0,1] neg_hi:[0,1]
	v_pk_fma_f32 v[36:37], v[58:59], 2.0, v[28:29] op_sel_hi:[1,0,1] neg_lo:[0,0,1] neg_hi:[0,0,1]
	v_mov_b32_e32 v58, v38
	v_mov_b32_e32 v59, v26
	v_fma_f32 v8, v41, 2.0, -v57
	v_mov_b32_e32 v9, v26
	v_add_f32_e32 v44, v34, v34
	v_pk_add_f32 v[34:35], v[34:35], v[80:81] neg_lo:[0,1] neg_hi:[0,1]
	v_pk_add_f32 v[12:13], v[38:39], v[8:9] neg_lo:[0,1] neg_hi:[0,1]
	v_pk_add_f32 v[26:27], v[38:39], v[58:59]
	v_pk_add_f32 v[40:41], v[44:45], v[34:35] neg_lo:[0,1] neg_hi:[0,1]
	v_mov_b32_e32 v13, v27
	v_add_f32_e32 v78, v45, v45
	v_mov_b32_e32 v82, v41
	v_pk_fma_f32 v[8:9], v[58:59], 2.0, v[12:13] op_sel_hi:[1,0,1] neg_lo:[0,0,1] neg_hi:[0,0,1]
	v_mov_b32_e32 v45, v34
	v_pk_add_f32 v[58:59], v[78:79], v[82:83] neg_lo:[0,1] neg_hi:[0,1]
	v_mov_b32_e32 v22, 2
	v_fma_f32 v34, v79, 2.0, -v59
	v_mov_b32_e32 v35, v45
	v_mad_u32_u24 v1, v43, s2, 0
	v_lshlrev_b32_sdwa v13, v22, v84 dst_sel:DWORD dst_unused:UNUSED_PAD src0_sel:DWORD src1_sel:BYTE_0
	v_mov_b32_e32 v44, v40
	v_pk_add_f32 v[38:39], v[40:41], v[34:35] neg_lo:[0,1] neg_hi:[0,1]
	v_pk_add_f32 v[40:41], v[40:41], v[34:35]
	v_add3_u32 v26, v1, v13, v68
	v_mad_u32_u24 v1, v85, s2, 0
	v_lshlrev_b32_sdwa v13, v22, v86 dst_sel:DWORD dst_unused:UNUSED_PAD src0_sel:DWORD src1_sel:BYTE_0
	v_mov_b32_e32 v39, v41
	v_add3_u32 v13, v1, v13, v68
	v_mad_u32_u24 v1, v87, s2, 0
	v_lshlrev_b32_sdwa v22, v22, v88 dst_sel:DWORD dst_unused:UNUSED_PAD src0_sel:DWORD src1_sel:BYTE_0
	v_pk_fma_f32 v[34:35], v[44:45], 2.0, v[38:39] op_sel_hi:[1,0,1] neg_lo:[0,0,1] neg_hi:[0,0,1]
	v_add3_u32 v30, v1, v22, v68
	ds_write2_b32 v26, v0, v4 offset1:13
	ds_write2_b32 v26, v32, v5 offset0:26 offset1:39
	ds_write2_b32 v13, v36, v37 offset1:13
	ds_write2_b32 v13, v28, v31 offset0:26 offset1:39
	ds_write2_b32 v30, v8, v9 offset1:13
	ds_write2_b32 v30, v12, v27 offset0:26 offset1:39
	s_and_saveexec_b64 s[2:3], s[0:1]
	s_xor_b64 s[2:3], exec, s[2:3]
	s_or_saveexec_b64 s[2:3], s[2:3]
	v_lshlrev_b32_e32 v29, 2, v42
	s_xor_b64 exec, exec, s[2:3]
	s_cbranch_execz .LBB0_18
; %bb.17:
	s_movk_i32 s4, 0x4f
	v_mul_lo_u16_sdwa v1, v63, s4 dst_sel:DWORD dst_unused:UNUSED_PAD src0_sel:BYTE_0 src1_sel:DWORD
	v_lshrrev_b16_e32 v1, 10, v1
	s_movk_i32 s4, 0xd0
	v_mad_u32_u24 v1, v1, s4, 0
	v_add3_u32 v1, v1, v29, v68
	ds_write2_b32 v1, v34, v35 offset1:13
	ds_write2_b32 v1, v38, v41 offset0:26 offset1:39
.LBB0_18:
	s_or_b64 exec, exec, s[2:3]
	v_cmp_gt_u32_e64 s[2:3], 52, v62
	v_cmp_lt_u32_e64 s[4:5], 51, v62
	s_waitcnt lgkmcnt(0)
	s_barrier
	s_waitcnt lgkmcnt(0)
                                        ; implicit-def: $vgpr44_vgpr45
                                        ; implicit-def: $vgpr42_vgpr43
	s_and_saveexec_b64 s[12:13], s[4:5]
	s_xor_b64 s[12:13], exec, s[12:13]
; %bb.19:
	v_mov_b32_e32 v33, v5
	v_mov_b64_e32 v[44:45], v[32:33]
	v_mov_b64_e32 v[42:43], v[36:37]
; %bb.20:
	s_or_saveexec_b64 s[12:13], s[12:13]
                                        ; implicit-def: $vgpr33
	s_xor_b64 exec, exec, s[12:13]
	s_cbranch_execz .LBB0_22
; %bb.21:
	v_add_u32_e32 v1, 0x400, v66
	ds_read_b32 v0, v67
	ds_read2_b32 v[4:5], v66 offset0:52 offset1:104
	ds_read2_b32 v[64:65], v66 offset0:156 offset1:208
	;; [unrolled: 1-line block ×4, first 2 shown]
	v_add_u32_e32 v1, 0x600, v66
	ds_read2_b32 v[38:39], v1 offset0:84 offset1:136
	v_add_u32_e32 v1, 0x800, v66
	ds_read2_b32 v[72:73], v1 offset0:60 offset1:112
	ds_read2_b32 v[74:75], v1 offset0:164 offset1:216
	v_add_u32_e32 v1, 0xc00, v66
	ds_read2_b32 v[32:33], v1 offset0:12 offset1:64
	s_waitcnt lgkmcnt(6)
	v_mov_b32_e32 v42, v65
	s_waitcnt lgkmcnt(5)
	v_mov_b32_e32 v43, v40
	v_mov_b32_e32 v44, v5
	;; [unrolled: 1-line block ×3, first 2 shown]
	s_waitcnt lgkmcnt(4)
	v_mov_b32_e32 v8, v37
	s_waitcnt lgkmcnt(3)
	v_mov_b32_e32 v9, v38
	;; [unrolled: 2-line block ×4, first 2 shown]
	v_mov_b32_e32 v28, v41
	v_mov_b32_e32 v31, v36
	;; [unrolled: 1-line block ×4, first 2 shown]
	s_waitcnt lgkmcnt(0)
	v_mov_b32_e32 v41, v32
	v_mov_b32_e32 v27, v72
	;; [unrolled: 1-line block ×6, first 2 shown]
.LBB0_22:
	s_or_b64 exec, exec, s[12:13]
	v_mul_f32_e32 v1, v23, v3
	v_fma_f32 v1, v49, v2, -v1
	v_mul_f32_e32 v2, v20, v7
	v_fma_f32 v6, v46, v6, -v2
	v_mul_f32_e32 v2, v21, v11
	v_sub_f32_e32 v7, v69, v6
	v_fma_f32 v10, v47, v10, -v2
	v_mul_f32_e32 v2, v25, v15
	v_fma_f32 v6, v69, 2.0, -v7
	v_fma_f32 v14, v51, v14, -v2
	v_pk_add_f32 v[20:21], v[6:7], v[52:53] neg_lo:[0,1] neg_hi:[0,1]
	v_sub_f32_e32 v3, v70, v1
	v_pk_fma_f32 v[46:47], v[6:7], 2.0, v[20:21] op_sel_hi:[1,0,1] neg_lo:[0,0,1] neg_hi:[0,0,1]
	v_sub_f32_e32 v7, v61, v10
	v_sub_f32_e32 v15, v60, v14
	v_fma_f32 v2, v70, 2.0, -v3
	v_fma_f32 v6, v61, 2.0, -v7
	;; [unrolled: 1-line block ×3, first 2 shown]
	v_pk_add_f32 v[24:25], v[2:3], v[54:55] neg_lo:[0,1] neg_hi:[0,1]
	v_pk_add_f32 v[10:11], v[6:7], v[56:57] neg_lo:[0,1] neg_hi:[0,1]
	;; [unrolled: 1-line block ×3, first 2 shown]
	v_fma_f32 v1, v2, 2.0, -v24
	v_fma_f32 v2, v3, 2.0, -v25
	v_pk_fma_f32 v[6:7], v[6:7], 2.0, v[10:11] op_sel_hi:[1,0,1] neg_lo:[0,0,1] neg_hi:[0,0,1]
	v_pk_fma_f32 v[14:15], v[14:15], 2.0, v[22:23] op_sel_hi:[1,0,1] neg_lo:[0,0,1] neg_hi:[0,0,1]
	s_barrier
	ds_write2_b32 v26, v1, v2 offset1:13
	ds_write2_b32 v26, v24, v25 offset0:26 offset1:39
	ds_write2_b32 v13, v46, v47 offset1:13
	ds_write2_b32 v13, v20, v21 offset0:26 offset1:39
	;; [unrolled: 2-line block ×3, first 2 shown]
	s_and_saveexec_b64 s[12:13], s[0:1]
	s_xor_b64 s[0:1], exec, s[12:13]
; %bb.23:
                                        ; implicit-def: $vgpr63
                                        ; implicit-def: $vgpr29
                                        ; implicit-def: $vgpr68
; %bb.24:
	s_andn2_saveexec_b64 s[0:1], s[0:1]
	s_cbranch_execz .LBB0_26
; %bb.25:
	s_movk_i32 s12, 0x4f
	v_mul_lo_u16_sdwa v3, v63, s12 dst_sel:DWORD dst_unused:UNUSED_PAD src0_sel:BYTE_0 src1_sel:DWORD
	v_lshrrev_b16_e32 v3, 10, v3
	s_movk_i32 s12, 0xd0
	v_mad_u32_u24 v3, v3, s12, 0
	v_add3_u32 v3, v3, v29, v68
	ds_write2_b32 v3, v14, v15 offset1:13
	ds_write2_b32 v3, v22, v23 offset0:26 offset1:39
.LBB0_26:
	s_or_b64 exec, exec, s[0:1]
	s_waitcnt lgkmcnt(0)
	s_barrier
	s_waitcnt lgkmcnt(0)
                                        ; implicit-def: $vgpr50_vgpr51
                                        ; implicit-def: $vgpr48_vgpr49
	s_and_saveexec_b64 s[0:1], s[4:5]
	s_xor_b64 s[0:1], exec, s[0:1]
; %bb.27:
	v_mov_b64_e32 v[50:51], v[24:25]
	v_mov_b64_e32 v[48:49], v[46:47]
                                        ; implicit-def: $vgpr67
                                        ; implicit-def: $vgpr66
; %bb.28:
	s_or_saveexec_b64 s[0:1], s[0:1]
                                        ; implicit-def: $vgpr53
	s_xor_b64 exec, exec, s[0:1]
	s_cbranch_execz .LBB0_30
; %bb.29:
	v_add_u32_e32 v6, 0x400, v66
	ds_read_b32 v1, v67
	ds_read2_b32 v[2:3], v66 offset0:52 offset1:104
	ds_read2_b32 v[54:55], v66 offset0:156 offset1:208
	ds_read2_b32 v[24:25], v6 offset0:4 offset1:56
	ds_read2_b32 v[20:21], v6 offset0:108 offset1:160
	v_add_u32_e32 v6, 0x600, v66
	ds_read2_b32 v[10:11], v6 offset0:84 offset1:136
	v_add_u32_e32 v6, 0x800, v66
	ds_read2_b32 v[46:47], v6 offset0:60 offset1:112
	ds_read2_b32 v[22:23], v6 offset0:164 offset1:216
	v_add_u32_e32 v6, 0xc00, v66
	ds_read2_b32 v[52:53], v6 offset0:12 offset1:64
	s_waitcnt lgkmcnt(6)
	v_mov_b32_e32 v48, v55
	s_waitcnt lgkmcnt(5)
	v_mov_b32_e32 v49, v24
	v_mov_b32_e32 v50, v3
	v_mov_b32_e32 v51, v54
	s_waitcnt lgkmcnt(4)
	v_mov_b32_e32 v6, v21
	s_waitcnt lgkmcnt(3)
	v_mov_b32_e32 v7, v10
	;; [unrolled: 2-line block ×4, first 2 shown]
	v_mov_b32_e32 v10, v11
	v_mov_b32_e32 v22, v23
	s_waitcnt lgkmcnt(0)
	v_mov_b32_e32 v23, v52
	v_mov_b32_e32 v11, v46
	v_mov_b32_e32 v21, v20
	v_mov_b32_e32 v20, v25
	v_mov_b32_e32 v46, v55
	v_mov_b32_e32 v47, v24
	v_mov_b32_e32 v24, v3
	v_mov_b32_e32 v25, v54
.LBB0_30:
	s_or_b64 exec, exec, s[0:1]
	v_cmp_gt_u32_e64 s[0:1], 52, v62
	s_and_b64 s[0:1], vcc, s[0:1]
	s_and_saveexec_b64 s[4:5], s[0:1]
	s_cbranch_execz .LBB0_32
; %bb.31:
	v_lshlrev_b32_e32 v3, 4, v62
	v_add_u32_e32 v13, 0xfffffcc0, v3
	v_cndmask_b32_e64 v54, v13, v3, s[2:3]
	v_mov_b32_e32 v55, 0
	v_lshl_add_u64 v[54:55], v[54:55], 3, s[8:9]
	global_load_dwordx4 v[66:69], v[54:55], off offset:312
	global_load_dwordx4 v[70:73], v[54:55], off offset:328
	;; [unrolled: 1-line block ×8, first 2 shown]
	v_mul_lo_u32 v3, s11, v18
	v_mul_lo_u32 v13, s10, v19
	v_mad_u64_u32 v[18:19], s[0:1], s10, v18, 0
	v_mad_u64_u32 v[56:57], s[0:1], s16, v62, 0
	v_add3_u32 v19, v19, v13, v3
	v_mov_b32_e32 v58, v57
	v_mad_u64_u32 v[54:55], s[0:1], s17, v62, v[58:59]
	v_lshl_add_u64 v[18:19], v[18:19], 3, s[6:7]
	v_mov_b32_e32 v26, v53
	v_mov_b32_e32 v40, v23
	v_mov_b32_e32 v57, v54
	v_lshl_add_u64 v[98:99], v[16:17], 3, v[18:19]
	v_mov_b32_e32 v30, v33
	v_mov_b32_e32 v52, v41
	v_lshl_add_u64 v[16:17], v[56:57], 3, v[98:99]
	s_mov_b32 s34, 0x3f3d2fb0
	s_mov_b32 s35, 0xbf2c7751
	;; [unrolled: 1-line block ×48, first 2 shown]
	s_waitcnt vmcnt(7)
	v_mul_f32_e32 v3, v4, v67
	s_waitcnt vmcnt(6)
	v_mul_f32_e32 v100, v25, v71
	v_mov_b32_e32 v19, v70
	v_mul_f32_e32 v102, v46, v73
	s_waitcnt vmcnt(5)
	v_mul_f32_e32 v54, v47, v75
	s_waitcnt vmcnt(2)
	v_pk_mul_f32 v[22:23], v[22:23], v[88:89] op_sel_hi:[0,1]
	v_fmac_f32_e32 v100, v5, v70
	v_mov_b32_e32 v70, v69
	v_mov_b32_e32 v18, v68
	v_pk_mul_f32 v[46:47], v[26:27], v[84:85] op_sel_hi:[0,1]
	v_fma_f32 v26, v2, v66, -v3
	v_fmac_f32_e32 v102, v36, v72
	v_fmac_f32_e32 v54, v37, v74
	v_pk_fma_f32 v[36:37], v[38:39], v[88:89], v[22:23] op_sel:[0,0,1] op_sel_hi:[0,1,0]
	v_pk_fma_f32 v[38:39], v[38:39], v[88:89], v[22:23] op_sel:[0,0,1] op_sel_hi:[0,1,0] neg_lo:[1,0,0] neg_hi:[1,0,0]
	v_pk_mul_f32 v[22:23], v[44:45], v[70:71]
	v_mul_f32_e32 v55, v2, v67
	v_mul_f32_e32 v56, v24, v69
	v_mov_b32_e32 v25, v74
	v_mul_f32_e32 v58, v20, v77
	v_mul_f32_e32 v13, v28, v77
	;; [unrolled: 1-line block ×4, first 2 shown]
	v_pk_mul_f32 v[40:41], v[40:41], v[82:83] op_sel_hi:[0,1]
	v_mov_b32_e32 v74, v73
	v_add_f32_e32 v2, v1, v26
	v_pk_fma_f32 v[50:51], v[50:51], v[18:19], v[22:23] neg_lo:[0,0,1] neg_hi:[0,0,1]
	v_mov_b32_e32 v24, v72
	v_fmac_f32_e32 v55, v4, v66
	v_fmac_f32_e32 v56, v32, v68
	;; [unrolled: 1-line block ×3, first 2 shown]
	v_fma_f32 v59, v20, v76, -v13
	v_fmac_f32_e32 v64, v31, v78
	v_fma_f32 v65, v21, v78, -v29
	v_pk_fma_f32 v[20:21], v[30:31], v[84:85], v[46:47] op_sel:[0,0,1] op_sel_hi:[0,1,0]
	v_pk_fma_f32 v[28:29], v[30:31], v[84:85], v[46:47] op_sel:[0,0,1] op_sel_hi:[0,1,0] neg_lo:[1,0,0] neg_hi:[1,0,0]
	v_pk_fma_f32 v[30:31], v[52:53], v[82:83], v[40:41] op_sel:[0,0,1] op_sel_hi:[0,1,0]
	v_pk_fma_f32 v[32:33], v[52:53], v[82:83], v[40:41] op_sel:[0,0,1] op_sel_hi:[0,1,0] neg_lo:[1,0,0] neg_hi:[1,0,0]
	v_pk_mul_f32 v[40:41], v[42:43], v[74:75]
	v_add_f32_e32 v2, v2, v50
	v_add_f32_e32 v4, v0, v55
	v_pk_fma_f32 v[68:69], v[48:49], v[24:25], v[40:41] neg_lo:[0,0,1] neg_hi:[0,0,1]
	v_add_f32_e32 v2, v2, v51
	v_add_f32_e32 v4, v4, v56
	;; [unrolled: 1-line block ×3, first 2 shown]
	v_pk_mul_f32 v[60:61], v[14:15], v[86:87] op_sel:[1,0]
	v_add_f32_e32 v3, v26, v29
	v_add_f32_e32 v4, v4, v100
	;; [unrolled: 1-line block ×3, first 2 shown]
	v_mov_b32_e32 v2, v11
	s_waitcnt vmcnt(0)
	v_pk_mul_f32 v[10:11], v[10:11], v[96:97] op_sel_hi:[0,1]
	v_pk_fma_f32 v[52:53], v[34:35], v[86:87], v[60:61] op_sel:[1,0,1] op_sel_hi:[1,1,0]
	v_pk_fma_f32 v[66:67], v[34:35], v[86:87], v[60:61] op_sel:[1,0,1] op_sel_hi:[1,1,0] neg_lo:[1,0,0] neg_hi:[1,0,0]
	v_add_f32_e32 v4, v4, v102
	v_pk_mul_f32 v[14:15], v[14:15], v[92:93] op_sel_hi:[0,1]
	v_pk_mul_f32 v[22:23], v[2:3], v[90:91] op_sel_hi:[0,1]
	v_mov_b32_e32 v2, v27
	v_pk_fma_f32 v[86:87], v[12:13], v[96:97], v[10:11] op_sel:[0,0,1] op_sel_hi:[0,1,0]
	v_pk_fma_f32 v[88:89], v[12:13], v[96:97], v[10:11] op_sel:[0,0,1] op_sel_hi:[0,1,0] neg_lo:[1,0,0] neg_hi:[1,0,0]
	v_pk_mul_f32 v[12:13], v[6:7], v[94:95] op_sel:[1,0]
	v_add_f32_e32 v18, v4, v54
	v_pk_fma_f32 v[72:73], v[34:35], v[92:93], v[14:15] op_sel:[0,0,1] op_sel_hi:[0,1,0]
	v_pk_fma_f32 v[34:35], v[34:35], v[92:93], v[14:15] op_sel:[0,0,1] op_sel_hi:[0,1,0] neg_lo:[1,0,0] neg_hi:[1,0,0]
	v_pk_fma_f32 v[82:83], v[2:3], v[90:91], v[22:23] op_sel:[0,0,1] op_sel_hi:[0,1,0]
	v_pk_fma_f32 v[84:85], v[2:3], v[90:91], v[22:23] op_sel:[0,0,1] op_sel_hi:[0,1,0] neg_lo:[1,0,0] neg_hi:[1,0,0]
	;; [unrolled: 2-line block ×3, first 2 shown]
	v_mov_b32_e32 v24, v81
	v_mov_b32_e32 v25, v80
	v_pk_mul_f32 v[8:9], v[8:9], v[80:81] op_sel_hi:[0,1]
	v_pk_fma_f32 v[94:95], v[6:7], v[24:25], v[8:9] op_sel_hi:[0,1,1]
	v_pk_fma_f32 v[96:97], v[6:7], v[24:25], v[8:9] op_sel_hi:[0,1,1] neg_lo:[0,0,1] neg_hi:[0,0,1]
	v_pk_add_f32 v[8:9], v[18:19], v[58:59]
	v_mov_b32_e32 v6, v94
	v_mov_b32_e32 v7, v97
	v_pk_add_f32 v[8:9], v[8:9], v[64:65]
	v_mov_b32_e32 v12, v90
	v_mov_b32_e32 v13, v93
	;; [unrolled: 3-line block ×8, first 2 shown]
	v_pk_add_f32 v[6:7], v[44:45], v[6:7]
	v_mov_b32_e32 v21, v29
	v_pk_add_f32 v[6:7], v[42:43], v[6:7]
	v_add_u32_e32 v9, 52, v62
	v_pk_add_f32 v[6:7], v[20:21], v[6:7]
	global_store_dwordx2 v[16:17], v[6:7], off
	v_mad_u64_u32 v[6:7], s[0:1], s16, v9, 0
	v_mov_b32_e32 v8, v7
	v_mad_u64_u32 v[8:9], s[0:1], s17, v9, v[8:9]
	v_mov_b32_e32 v7, v8
	v_add_u32_e32 v9, 0x68, v62
	v_lshl_add_u64 v[76:77], v[6:7], 3, v[98:99]
	v_mad_u64_u32 v[6:7], s[0:1], s16, v9, 0
	v_mov_b32_e32 v8, v7
	v_mad_u64_u32 v[8:9], s[0:1], s17, v9, v[8:9]
	v_mov_b32_e32 v7, v8
	v_add_u32_e32 v9, 0x9c, v62
	v_lshl_add_u64 v[80:81], v[6:7], 3, v[98:99]
	;; [unrolled: 6-line block ×7, first 2 shown]
	v_mad_u64_u32 v[6:7], s[0:1], s16, v9, 0
	v_mov_b32_e32 v8, v7
	v_mad_u64_u32 v[8:9], s[0:1], s17, v9, v[8:9]
	v_add_u32_e32 v11, 0x1d4, v62
	v_mov_b32_e32 v7, v8
	v_mad_u64_u32 v[8:9], s[0:1], s16, v11, 0
	v_mov_b32_e32 v10, v9
	v_mad_u64_u32 v[10:11], s[0:1], s17, v11, v[10:11]
	v_add_u32_e32 v13, 0x208, v62
	v_mov_b32_e32 v9, v10
	;; [unrolled: 5-line block ×6, first 2 shown]
	v_mad_u64_u32 v[18:19], s[0:1], s16, v21, 0
	v_sub_f32_e32 v5, v55, v20
	v_add_f32_e32 v4, v55, v20
	v_mov_b32_e32 v20, v19
	v_mad_u64_u32 v[20:21], s[0:1], s17, v21, v[20:21]
	v_add_u32_e32 v23, 0x30c, v62
	v_mov_b32_e32 v19, v20
	v_mad_u64_u32 v[20:21], s[0:1], s16, v23, 0
	v_mov_b32_e32 v22, v21
	v_mad_u64_u32 v[22:23], s[0:1], s17, v23, v[22:23]
	v_or_b32_e32 v27, 0x340, v62
	v_mov_b32_e32 v21, v22
	v_mad_u64_u32 v[22:23], s[0:1], s16, v27, 0
	v_sub_f32_e32 v2, v26, v29
	v_mov_b32_e32 v26, v23
	v_mad_u64_u32 v[26:27], s[0:1], s17, v27, v[26:27]
	v_mov_b32_e32 v23, v26
	v_pk_add_f32 v[40:41], v[56:57], v[30:31]
	v_pk_add_f32 v[26:27], v[56:57], v[30:31] neg_lo:[0,1] neg_hi:[0,1]
	v_pk_add_f32 v[42:43], v[50:51], v[32:33] op_sel:[0,1] neg_lo:[0,1] neg_hi:[0,1]
	v_mov_b32_e32 v41, v26
	v_pk_add_f32 v[26:27], v[50:51], v[32:33] op_sel_hi:[0,1]
	v_pk_add_f32 v[48:49], v[102:103], v[52:53]
	v_pk_add_f32 v[30:31], v[102:103], v[52:53] neg_lo:[0,1] neg_hi:[0,1]
	v_pk_add_f32 v[52:53], v[54:55], v[72:73]
	v_pk_add_f32 v[32:33], v[54:55], v[72:73] neg_lo:[0,1] neg_hi:[0,1]
	s_mov_b32 s16, 0x3f6eb680
	v_mov_b32_e32 v53, v32
	v_pk_add_f32 v[56:57], v[68:69], v[34:35] neg_lo:[0,1] neg_hi:[0,1]
	v_pk_add_f32 v[32:33], v[68:69], v[34:35]
	v_pk_add_f32 v[54:55], v[58:59], v[82:83]
	v_pk_add_f32 v[34:35], v[58:59], v[82:83] neg_lo:[0,1] neg_hi:[0,1]
	s_mov_b32 s17, 0xbeb8f4ab
	v_pk_add_f32 v[44:45], v[100:101], v[36:37]
	v_pk_add_f32 v[28:29], v[100:101], v[36:37] neg_lo:[0,1] neg_hi:[0,1]
	v_mov_b32_e32 v55, v34
	v_mov_b32_e32 v34, v59
	;; [unrolled: 1-line block ×3, first 2 shown]
	v_pk_mul_f32 v[82:83], v[4:5], s[16:17]
	s_mov_b32 s12, s17
	s_mov_b32 s13, s16
	v_lshl_add_u64 v[6:7], v[6:7], 3, v[98:99]
	v_lshl_add_u64 v[8:9], v[8:9], 3, v[98:99]
	;; [unrolled: 1-line block ×9, first 2 shown]
	v_mov_b32_e32 v26, v42
	v_pk_add_f32 v[62:63], v[34:35], v[84:85] op_sel:[0,1] neg_lo:[0,1] neg_hi:[0,1]
	v_pk_add_f32 v[34:35], v[36:37], v[84:85] op_sel_hi:[0,1]
	v_pk_mul_f32 v[84:85], v[40:41], s[34:35]
	v_pk_fma_f32 v[72:73], v[2:3], s[12:13], v[82:83] neg_lo:[1,0,0] neg_hi:[1,0,0]
	v_pk_fma_f32 v[98:99], v[2:3], s[12:13], v[82:83]
	v_mov_b32_e32 v45, v28
	v_pk_add_f32 v[46:47], v[50:51], v[38:39] neg_lo:[0,1] neg_hi:[0,1]
	v_pk_add_f32 v[28:29], v[50:51], v[38:39]
	v_mov_b32_e32 v73, v99
	v_pk_fma_f32 v[100:101], v[42:43], s[26:27], v[84:85] neg_lo:[1,0,0] neg_hi:[1,0,0]
	v_pk_fma_f32 v[102:103], v[26:27], s[26:27], v[84:85]
	v_mov_b32_e32 v28, v47
	v_pk_add_f32 v[58:59], v[64:65], v[86:87]
	v_pk_add_f32 v[36:37], v[64:65], v[86:87] neg_lo:[0,1] neg_hi:[0,1]
	v_pk_mul_f32 v[86:87], v[44:45], s[42:43]
	v_pk_add_f32 v[72:73], v[0:1], v[72:73]
	v_mov_b32_e32 v101, v103
	v_mov_b32_e32 v49, v30
	v_pk_add_f32 v[50:51], v[68:69], v[66:67] op_sel:[0,1] neg_lo:[0,1] neg_hi:[0,1]
	v_pk_add_f32 v[30:31], v[68:69], v[66:67] op_sel_hi:[0,1]
	v_mov_b32_e32 v59, v36
	v_mov_b32_e32 v36, v65
	;; [unrolled: 1-line block ×3, first 2 shown]
	v_pk_add_f32 v[72:73], v[72:73], v[100:101]
	v_pk_fma_f32 v[100:101], v[46:47], s[38:39], v[86:87] op_sel:[1,0,0] neg_lo:[1,0,0] neg_hi:[1,0,0]
	v_pk_fma_f32 v[104:105], v[28:29], s[38:39], v[86:87]
	v_mov_b32_e32 v30, v50
	v_pk_add_f32 v[66:67], v[36:37], v[88:89] op_sel:[0,1] neg_lo:[0,1] neg_hi:[0,1]
	v_pk_add_f32 v[36:37], v[38:39], v[88:89] op_sel_hi:[0,1]
	v_pk_mul_f32 v[88:89], v[48:49], s[22:23]
	v_mov_b32_e32 v101, v105
	v_pk_add_f32 v[72:73], v[72:73], v[100:101]
	v_pk_fma_f32 v[100:101], v[50:51], s[18:19], v[88:89] neg_lo:[1,0,0] neg_hi:[1,0,0]
	v_pk_fma_f32 v[106:107], v[30:31], s[18:19], v[88:89]
	v_mov_b32_e32 v32, v57
	v_pk_add_f32 v[64:65], v[94:95], v[90:91]
	v_pk_add_f32 v[38:39], v[94:95], v[90:91] neg_lo:[0,1] neg_hi:[0,1]
	v_pk_mul_f32 v[90:91], v[52:53], s[4:5]
	s_mov_b32 s0, s5
	s_mov_b32 s1, s4
	v_mov_b32_e32 v101, v107
	v_pk_fma_f32 v[82:83], v[2:3], s[12:13], v[82:83] neg_lo:[0,0,1] neg_hi:[0,0,1]
	v_pk_add_f32 v[72:73], v[72:73], v[100:101]
	v_pk_fma_f32 v[100:101], v[56:57], s[0:1], v[90:91] op_sel:[1,0,0] neg_lo:[1,0,0] neg_hi:[1,0,0]
	v_pk_fma_f32 v[108:109], v[32:33], s[0:1], v[90:91]
	v_mov_b32_e32 v99, v83
	v_pk_fma_f32 v[84:85], v[26:27], s[26:27], v[84:85] neg_lo:[0,0,1] neg_hi:[0,0,1]
	v_mov_b32_e32 v34, v62
	v_mov_b32_e32 v65, v38
	v_pk_add_f32 v[68:69], v[96:97], v[92:93] neg_lo:[0,1] neg_hi:[0,1]
	v_pk_add_f32 v[38:39], v[96:97], v[92:93]
	v_pk_mul_f32 v[92:93], v[54:55], s[10:11]
	v_mov_b32_e32 v101, v109
	v_pk_add_f32 v[82:83], v[0:1], v[98:99]
	v_mov_b32_e32 v103, v85
	v_pk_fma_f32 v[84:85], v[28:29], s[38:39], v[86:87] neg_lo:[0,0,1] neg_hi:[0,0,1]
	v_pk_add_f32 v[72:73], v[72:73], v[100:101]
	v_pk_fma_f32 v[100:101], v[62:63], s[2:3], v[92:93] neg_lo:[1,0,0] neg_hi:[1,0,0]
	v_pk_fma_f32 v[110:111], v[34:35], s[2:3], v[92:93]
	v_pk_add_f32 v[82:83], v[82:83], v[102:103]
	v_mov_b32_e32 v105, v85
	v_pk_fma_f32 v[84:85], v[30:31], s[18:19], v[88:89] neg_lo:[0,0,1] neg_hi:[0,0,1]
	v_mov_b32_e32 v36, v66
	v_pk_mul_f32 v[94:95], v[58:59], s[14:15]
	v_mov_b32_e32 v101, v111
	v_pk_add_f32 v[82:83], v[82:83], v[104:105]
	v_mov_b32_e32 v107, v85
	v_pk_fma_f32 v[84:85], v[32:33], s[0:1], v[90:91] neg_lo:[0,0,1] neg_hi:[0,0,1]
	v_pk_add_f32 v[72:73], v[72:73], v[100:101]
	v_pk_fma_f32 v[100:101], v[66:67], s[6:7], v[94:95] neg_lo:[1,0,0] neg_hi:[1,0,0]
	v_pk_fma_f32 v[112:113], v[36:37], s[6:7], v[94:95]
	v_pk_add_f32 v[82:83], v[82:83], v[106:107]
	v_mov_b32_e32 v109, v85
	v_pk_fma_f32 v[84:85], v[34:35], s[2:3], v[92:93] neg_lo:[0,0,1] neg_hi:[0,0,1]
	v_mov_b32_e32 v38, v69
	v_pk_mul_f32 v[96:97], v[64:65], s[20:21]
	v_mov_b32_e32 v101, v113
	v_pk_add_f32 v[82:83], v[82:83], v[108:109]
	v_mov_b32_e32 v111, v85
	v_pk_fma_f32 v[84:85], v[36:37], s[6:7], v[94:95] neg_lo:[0,0,1] neg_hi:[0,0,1]
	v_pk_add_f32 v[72:73], v[72:73], v[100:101]
	v_pk_fma_f32 v[100:101], v[68:69], s[8:9], v[96:97] op_sel:[1,0,0] neg_lo:[1,0,0] neg_hi:[1,0,0]
	v_pk_fma_f32 v[114:115], v[38:39], s[8:9], v[96:97]
	v_pk_add_f32 v[82:83], v[82:83], v[110:111]
	v_mov_b32_e32 v113, v85
	v_pk_fma_f32 v[84:85], v[38:39], s[8:9], v[96:97] neg_lo:[0,0,1] neg_hi:[0,0,1]
	v_mov_b32_e32 v101, v115
	v_pk_add_f32 v[82:83], v[82:83], v[112:113]
	v_mov_b32_e32 v115, v85
	v_pk_add_f32 v[82:83], v[82:83], v[114:115]
	global_store_dwordx2 v[76:77], v[82:83], off
	v_pk_mul_f32 v[82:83], v[4:5], s[34:35]
	v_pk_mul_f32 v[86:87], v[40:41], s[22:23]
	v_pk_fma_f32 v[76:77], v[2:3], s[26:27], v[82:83] neg_lo:[1,0,0] neg_hi:[1,0,0]
	v_pk_fma_f32 v[84:85], v[2:3], s[26:27], v[82:83]
	v_pk_add_f32 v[72:73], v[72:73], v[100:101]
	v_mov_b32_e32 v77, v85
	v_pk_fma_f32 v[100:101], v[42:43], s[18:19], v[86:87] neg_lo:[1,0,0] neg_hi:[1,0,0]
	v_pk_fma_f32 v[102:103], v[26:27], s[18:19], v[86:87]
	v_pk_add_f32 v[76:77], v[0:1], v[76:77]
	v_pk_mul_f32 v[88:89], v[44:45], s[10:11]
	v_mov_b32_e32 v101, v103
	v_pk_add_f32 v[76:77], v[76:77], v[100:101]
	v_pk_fma_f32 v[100:101], v[46:47], s[2:3], v[88:89] op_sel:[1,0,0] neg_lo:[1,0,0] neg_hi:[1,0,0]
	v_pk_fma_f32 v[104:105], v[28:29], s[2:3], v[88:89]
	v_pk_mul_f32 v[90:91], v[48:49], s[20:21]
	v_mov_b32_e32 v101, v105
	v_pk_add_f32 v[76:77], v[76:77], v[100:101]
	v_pk_fma_f32 v[100:101], v[50:51], s[8:9], v[90:91] neg_lo:[1,0,0] neg_hi:[1,0,0]
	v_pk_fma_f32 v[106:107], v[30:31], s[8:9], v[90:91]
	v_pk_fma_f32 v[82:83], v[2:3], s[26:27], v[82:83] neg_lo:[0,0,1] neg_hi:[0,0,1]
	v_pk_mul_f32 v[92:93], v[52:53], s[52:53]
	v_mov_b32_e32 v101, v107
	v_mov_b32_e32 v85, v83
	v_pk_add_f32 v[76:77], v[76:77], v[100:101]
	v_pk_fma_f32 v[100:101], v[56:57], s[50:51], v[92:93] op_sel:[1,0,0] neg_lo:[1,0,0] neg_hi:[1,0,0]
	v_pk_fma_f32 v[108:109], v[32:33], s[50:51], v[92:93]
	v_pk_add_f32 v[82:83], v[0:1], v[84:85]
	v_pk_fma_f32 v[84:85], v[26:27], s[18:19], v[86:87] neg_lo:[0,0,1] neg_hi:[0,0,1]
	v_pk_mul_f32 v[94:95], v[54:55], s[48:49]
	v_mov_b32_e32 v101, v109
	v_mov_b32_e32 v103, v85
	v_pk_fma_f32 v[84:85], v[28:29], s[2:3], v[88:89] neg_lo:[0,0,1] neg_hi:[0,0,1]
	v_pk_add_f32 v[76:77], v[76:77], v[100:101]
	v_pk_fma_f32 v[100:101], v[62:63], s[46:47], v[94:95] neg_lo:[1,0,0] neg_hi:[1,0,0]
	v_pk_fma_f32 v[110:111], v[34:35], s[46:47], v[94:95]
	v_pk_add_f32 v[82:83], v[82:83], v[102:103]
	v_mov_b32_e32 v105, v85
	v_pk_fma_f32 v[84:85], v[30:31], s[8:9], v[90:91] neg_lo:[0,0,1] neg_hi:[0,0,1]
	v_pk_mul_f32 v[96:97], v[58:59], s[30:31]
	v_mov_b32_e32 v101, v111
	v_pk_add_f32 v[82:83], v[82:83], v[104:105]
	v_mov_b32_e32 v107, v85
	v_pk_fma_f32 v[84:85], v[32:33], s[50:51], v[92:93] neg_lo:[0,0,1] neg_hi:[0,0,1]
	s_mov_b32 s36, s16
	v_pk_add_f32 v[76:77], v[76:77], v[100:101]
	v_pk_fma_f32 v[100:101], v[66:67], s[24:25], v[96:97] neg_lo:[1,0,0] neg_hi:[1,0,0]
	v_pk_fma_f32 v[112:113], v[36:37], s[24:25], v[96:97]
	v_pk_add_f32 v[82:83], v[82:83], v[106:107]
	v_mov_b32_e32 v109, v85
	v_pk_fma_f32 v[84:85], v[34:35], s[46:47], v[94:95] neg_lo:[0,0,1] neg_hi:[0,0,1]
	v_pk_mul_f32 v[98:99], v[64:65], s[36:37]
	s_mov_b32 s29, s16
	v_mov_b32_e32 v101, v113
	v_pk_add_f32 v[82:83], v[82:83], v[108:109]
	v_mov_b32_e32 v111, v85
	v_pk_fma_f32 v[84:85], v[36:37], s[24:25], v[96:97] neg_lo:[0,0,1] neg_hi:[0,0,1]
	v_pk_add_f32 v[76:77], v[76:77], v[100:101]
	v_pk_fma_f32 v[100:101], v[68:69], s[28:29], v[98:99] op_sel:[1,0,0] neg_lo:[1,0,0] neg_hi:[1,0,0]
	v_pk_fma_f32 v[114:115], v[38:39], s[28:29], v[98:99]
	v_pk_add_f32 v[82:83], v[82:83], v[110:111]
	v_mov_b32_e32 v113, v85
	v_pk_fma_f32 v[84:85], v[38:39], s[28:29], v[98:99] neg_lo:[0,0,1] neg_hi:[0,0,1]
	v_mov_b32_e32 v101, v115
	v_pk_add_f32 v[82:83], v[82:83], v[112:113]
	v_mov_b32_e32 v115, v85
	v_pk_add_f32 v[82:83], v[82:83], v[114:115]
	global_store_dwordx2 v[80:81], v[82:83], off
	v_pk_mul_f32 v[82:83], v[4:5], s[42:43]
	v_pk_mul_f32 v[86:87], v[40:41], s[10:11]
	v_pk_fma_f32 v[80:81], v[2:3], s[38:39], v[82:83] neg_lo:[1,0,0] neg_hi:[1,0,0]
	v_pk_fma_f32 v[84:85], v[2:3], s[38:39], v[82:83]
	v_pk_fma_f32 v[88:89], v[42:43], s[2:3], v[86:87] neg_lo:[1,0,0] neg_hi:[1,0,0]
	v_mov_b32_e32 v81, v85
	v_pk_fma_f32 v[90:91], v[26:27], s[2:3], v[86:87]
	v_pk_add_f32 v[80:81], v[0:1], v[80:81]
	v_mov_b32_e32 v89, v91
	v_pk_add_f32 v[80:81], v[80:81], v[88:89]
	v_pk_mul_f32 v[88:89], v[44:45], s[40:41]
	s_mov_b32 s40, s45
	v_pk_fma_f32 v[92:93], v[46:47], s[54:55], v[88:89] op_sel:[1,0,0] neg_lo:[1,0,0] neg_hi:[1,0,0]
	v_pk_fma_f32 v[94:95], v[28:29], s[54:55], v[88:89]
	s_mov_b32 s41, s34
	v_mov_b32_e32 v93, v95
	v_pk_add_f32 v[80:81], v[80:81], v[92:93]
	v_pk_mul_f32 v[92:93], v[48:49], s[48:49]
	v_pk_add_f32 v[76:77], v[76:77], v[100:101]
	v_pk_fma_f32 v[96:97], v[50:51], s[46:47], v[92:93] neg_lo:[1,0,0] neg_hi:[1,0,0]
	v_pk_fma_f32 v[98:99], v[30:31], s[46:47], v[92:93]
	v_pk_fma_f32 v[82:83], v[2:3], s[38:39], v[82:83] neg_lo:[0,0,1] neg_hi:[0,0,1]
	v_mov_b32_e32 v97, v99
	v_pk_add_f32 v[80:81], v[80:81], v[96:97]
	v_pk_mul_f32 v[96:97], v[52:53], s[44:45]
	v_mov_b32_e32 v85, v83
	v_pk_fma_f32 v[100:101], v[56:57], s[40:41], v[96:97] op_sel:[1,0,0] neg_lo:[1,0,0] neg_hi:[1,0,0]
	v_pk_fma_f32 v[102:103], v[32:33], s[40:41], v[96:97]
	v_pk_add_f32 v[82:83], v[0:1], v[84:85]
	v_mov_b32_e32 v101, v103
	v_pk_add_f32 v[80:81], v[80:81], v[100:101]
	v_pk_mul_f32 v[100:101], v[54:55], s[16:17]
	v_pk_fma_f32 v[84:85], v[26:27], s[2:3], v[86:87] neg_lo:[0,0,1] neg_hi:[0,0,1]
	v_pk_fma_f32 v[104:105], v[62:63], s[12:13], v[100:101] neg_lo:[1,0,0] neg_hi:[1,0,0]
	v_pk_fma_f32 v[106:107], v[34:35], s[12:13], v[100:101]
	v_mov_b32_e32 v91, v85
	v_mov_b32_e32 v105, v107
	v_pk_fma_f32 v[84:85], v[28:29], s[54:55], v[88:89] neg_lo:[0,0,1] neg_hi:[0,0,1]
	v_pk_add_f32 v[80:81], v[80:81], v[104:105]
	v_pk_mul_f32 v[104:105], v[58:59], s[22:23]
	v_pk_add_f32 v[82:83], v[82:83], v[90:91]
	v_mov_b32_e32 v95, v85
	v_pk_fma_f32 v[84:85], v[30:31], s[46:47], v[92:93] neg_lo:[0,0,1] neg_hi:[0,0,1]
	v_pk_fma_f32 v[108:109], v[66:67], s[18:19], v[104:105] neg_lo:[1,0,0] neg_hi:[1,0,0]
	v_pk_fma_f32 v[110:111], v[36:37], s[18:19], v[104:105]
	v_pk_add_f32 v[82:83], v[82:83], v[94:95]
	v_mov_b32_e32 v99, v85
	v_pk_fma_f32 v[84:85], v[32:33], s[40:41], v[96:97] neg_lo:[0,0,1] neg_hi:[0,0,1]
	v_mov_b32_e32 v109, v111
	v_pk_add_f32 v[82:83], v[82:83], v[98:99]
	v_mov_b32_e32 v103, v85
	v_pk_fma_f32 v[84:85], v[34:35], s[12:13], v[100:101] neg_lo:[0,0,1] neg_hi:[0,0,1]
	v_pk_add_f32 v[80:81], v[80:81], v[108:109]
	v_pk_mul_f32 v[108:109], v[64:65], s[14:15]
	v_pk_add_f32 v[82:83], v[82:83], v[102:103]
	v_mov_b32_e32 v107, v85
	v_pk_fma_f32 v[84:85], v[36:37], s[18:19], v[104:105] neg_lo:[0,0,1] neg_hi:[0,0,1]
	v_pk_fma_f32 v[112:113], v[68:69], s[6:7], v[108:109] op_sel:[1,0,0] neg_lo:[1,0,0] neg_hi:[1,0,0]
	v_pk_fma_f32 v[114:115], v[38:39], s[6:7], v[108:109]
	v_pk_add_f32 v[82:83], v[82:83], v[106:107]
	v_mov_b32_e32 v111, v85
	v_pk_fma_f32 v[84:85], v[38:39], s[6:7], v[108:109] neg_lo:[0,0,1] neg_hi:[0,0,1]
	v_mov_b32_e32 v113, v115
	v_pk_add_f32 v[82:83], v[82:83], v[110:111]
	v_mov_b32_e32 v115, v85
	v_pk_add_f32 v[82:83], v[82:83], v[114:115]
	global_store_dwordx2 v[78:79], v[82:83], off
	v_pk_mul_f32 v[82:83], v[4:5], s[22:23]
	v_pk_mul_f32 v[86:87], v[40:41], s[20:21]
	v_pk_fma_f32 v[78:79], v[2:3], s[18:19], v[82:83] neg_lo:[1,0,0] neg_hi:[1,0,0]
	v_pk_fma_f32 v[84:85], v[2:3], s[18:19], v[82:83]
	v_pk_fma_f32 v[88:89], v[42:43], s[8:9], v[86:87] neg_lo:[1,0,0] neg_hi:[1,0,0]
	v_mov_b32_e32 v79, v85
	v_pk_fma_f32 v[90:91], v[26:27], s[8:9], v[86:87]
	v_pk_add_f32 v[78:79], v[0:1], v[78:79]
	v_mov_b32_e32 v89, v91
	v_pk_add_f32 v[78:79], v[78:79], v[88:89]
	v_pk_mul_f32 v[88:89], v[44:45], s[48:49]
	v_pk_fma_f32 v[82:83], v[2:3], s[18:19], v[82:83] neg_lo:[0,0,1] neg_hi:[0,0,1]
	v_pk_fma_f32 v[92:93], v[46:47], s[46:47], v[88:89] op_sel:[1,0,0] neg_lo:[1,0,0] neg_hi:[1,0,0]
	v_pk_fma_f32 v[94:95], v[28:29], s[46:47], v[88:89]
	v_mov_b32_e32 v85, v83
	v_mov_b32_e32 v93, v95
	v_pk_add_f32 v[78:79], v[78:79], v[92:93]
	v_pk_mul_f32 v[92:93], v[48:49], s[36:37]
	v_pk_add_f32 v[82:83], v[0:1], v[84:85]
	v_pk_fma_f32 v[96:97], v[50:51], s[28:29], v[92:93] neg_lo:[1,0,0] neg_hi:[1,0,0]
	v_pk_fma_f32 v[98:99], v[30:31], s[28:29], v[92:93]
	v_pk_fma_f32 v[84:85], v[26:27], s[8:9], v[86:87] neg_lo:[0,0,1] neg_hi:[0,0,1]
	v_mov_b32_e32 v97, v99
	v_pk_add_f32 v[78:79], v[78:79], v[96:97]
	v_pk_mul_f32 v[96:97], v[52:53], s[42:43]
	v_mov_b32_e32 v91, v85
	v_pk_fma_f32 v[100:101], v[56:57], s[38:39], v[96:97] op_sel:[1,0,0] neg_lo:[1,0,0] neg_hi:[1,0,0]
	v_pk_fma_f32 v[102:103], v[32:33], s[38:39], v[96:97]
	v_pk_fma_f32 v[84:85], v[28:29], s[46:47], v[88:89] neg_lo:[0,0,1] neg_hi:[0,0,1]
	v_mov_b32_e32 v101, v103
	v_pk_add_f32 v[78:79], v[78:79], v[100:101]
	v_pk_mul_f32 v[100:101], v[54:55], s[14:15]
	s_mov_b32 s54, s57
	v_pk_fma_f32 v[104:105], v[62:63], s[6:7], v[100:101] neg_lo:[1,0,0] neg_hi:[1,0,0]
	v_pk_fma_f32 v[106:107], v[34:35], s[6:7], v[100:101]
	s_mov_b32 s55, s10
	v_mov_b32_e32 v105, v107
	v_pk_add_f32 v[78:79], v[78:79], v[104:105]
	v_pk_mul_f32 v[104:105], v[58:59], s[56:57]
	v_pk_add_f32 v[82:83], v[82:83], v[90:91]
	v_mov_b32_e32 v95, v85
	v_pk_fma_f32 v[84:85], v[30:31], s[28:29], v[92:93] neg_lo:[0,0,1] neg_hi:[0,0,1]
	v_pk_fma_f32 v[108:109], v[66:67], s[54:55], v[104:105] neg_lo:[1,0,0] neg_hi:[1,0,0]
	v_pk_fma_f32 v[110:111], v[36:37], s[54:55], v[104:105]
	v_pk_add_f32 v[82:83], v[82:83], v[94:95]
	v_mov_b32_e32 v99, v85
	v_pk_fma_f32 v[84:85], v[32:33], s[38:39], v[96:97] neg_lo:[0,0,1] neg_hi:[0,0,1]
	v_mov_b32_e32 v109, v111
	v_pk_add_f32 v[82:83], v[82:83], v[98:99]
	v_mov_b32_e32 v103, v85
	v_pk_fma_f32 v[84:85], v[34:35], s[6:7], v[100:101] neg_lo:[0,0,1] neg_hi:[0,0,1]
	v_pk_add_f32 v[78:79], v[78:79], v[108:109]
	v_pk_mul_f32 v[108:109], v[64:65], s[44:45]
	v_pk_add_f32 v[82:83], v[82:83], v[102:103]
	v_mov_b32_e32 v107, v85
	v_pk_fma_f32 v[84:85], v[36:37], s[54:55], v[104:105] neg_lo:[0,0,1] neg_hi:[0,0,1]
	v_pk_add_f32 v[80:81], v[80:81], v[112:113]
	v_pk_fma_f32 v[112:113], v[68:69], s[40:41], v[108:109] op_sel:[1,0,0] neg_lo:[1,0,0] neg_hi:[1,0,0]
	v_pk_fma_f32 v[114:115], v[38:39], s[40:41], v[108:109]
	v_pk_add_f32 v[82:83], v[82:83], v[106:107]
	v_mov_b32_e32 v111, v85
	v_pk_fma_f32 v[84:85], v[38:39], s[40:41], v[108:109] neg_lo:[0,0,1] neg_hi:[0,0,1]
	v_mov_b32_e32 v113, v115
	v_pk_add_f32 v[82:83], v[82:83], v[110:111]
	v_mov_b32_e32 v115, v85
	v_pk_add_f32 v[82:83], v[82:83], v[114:115]
	global_store_dwordx2 v[74:75], v[82:83], off
	v_pk_mul_f32 v[82:83], v[4:5], s[4:5]
	v_pk_mul_f32 v[86:87], v[40:41], s[52:53]
	v_pk_fma_f32 v[74:75], v[2:3], s[0:1], v[82:83] neg_lo:[1,0,0] neg_hi:[1,0,0]
	v_pk_fma_f32 v[84:85], v[2:3], s[0:1], v[82:83]
	v_pk_fma_f32 v[88:89], v[42:43], s[50:51], v[86:87] neg_lo:[1,0,0] neg_hi:[1,0,0]
	v_mov_b32_e32 v75, v85
	v_pk_fma_f32 v[90:91], v[26:27], s[50:51], v[86:87]
	v_pk_add_f32 v[74:75], v[0:1], v[74:75]
	v_mov_b32_e32 v89, v91
	v_pk_add_f32 v[74:75], v[74:75], v[88:89]
	v_pk_mul_f32 v[88:89], v[44:45], s[44:45]
	s_mov_b32 s53, 0x3f7ee86f
	v_pk_fma_f32 v[92:93], v[46:47], s[40:41], v[88:89] op_sel:[1,0,0] neg_lo:[1,0,0] neg_hi:[1,0,0]
	v_pk_fma_f32 v[94:95], v[28:29], s[40:41], v[88:89]
	s_mov_b32 s52, s22
	v_mov_b32_e32 v93, v95
	v_pk_add_f32 v[74:75], v[74:75], v[92:93]
	v_pk_mul_f32 v[92:93], v[48:49], s[42:43]
	v_pk_fma_f32 v[82:83], v[2:3], s[0:1], v[82:83] neg_lo:[0,0,1] neg_hi:[0,0,1]
	v_pk_fma_f32 v[96:97], v[50:51], s[38:39], v[92:93] neg_lo:[1,0,0] neg_hi:[1,0,0]
	v_pk_fma_f32 v[98:99], v[30:31], s[38:39], v[92:93]
	s_mov_b32 s42, s53
	v_mov_b32_e32 v97, v99
	v_pk_add_f32 v[74:75], v[74:75], v[96:97]
	v_pk_mul_f32 v[96:97], v[52:53], s[20:21]
	s_mov_b32 s43, s22
	v_pk_fma_f32 v[100:101], v[56:57], s[8:9], v[96:97] op_sel:[1,0,0] neg_lo:[1,0,0] neg_hi:[1,0,0]
	v_pk_fma_f32 v[102:103], v[32:33], s[8:9], v[96:97]
	v_mov_b32_e32 v85, v83
	v_mov_b32_e32 v101, v103
	v_pk_add_f32 v[74:75], v[74:75], v[100:101]
	v_pk_mul_f32 v[100:101], v[54:55], s[52:53]
	v_pk_add_f32 v[82:83], v[0:1], v[84:85]
	v_pk_fma_f32 v[104:105], v[62:63], s[42:43], v[100:101] neg_lo:[1,0,0] neg_hi:[1,0,0]
	v_pk_fma_f32 v[106:107], v[34:35], s[42:43], v[100:101]
	v_pk_fma_f32 v[84:85], v[26:27], s[50:51], v[86:87] neg_lo:[0,0,1] neg_hi:[0,0,1]
	v_mov_b32_e32 v105, v107
	v_mov_b32_e32 v91, v85
	v_pk_fma_f32 v[84:85], v[28:29], s[40:41], v[88:89] neg_lo:[0,0,1] neg_hi:[0,0,1]
	v_pk_add_f32 v[74:75], v[74:75], v[104:105]
	v_pk_mul_f32 v[104:105], v[58:59], s[16:17]
	v_pk_add_f32 v[82:83], v[82:83], v[90:91]
	v_mov_b32_e32 v95, v85
	v_pk_fma_f32 v[84:85], v[30:31], s[38:39], v[92:93] neg_lo:[0,0,1] neg_hi:[0,0,1]
	v_pk_fma_f32 v[108:109], v[66:67], s[12:13], v[104:105] neg_lo:[1,0,0] neg_hi:[1,0,0]
	v_pk_fma_f32 v[110:111], v[36:37], s[12:13], v[104:105]
	v_pk_add_f32 v[82:83], v[82:83], v[94:95]
	v_mov_b32_e32 v99, v85
	v_pk_fma_f32 v[84:85], v[32:33], s[8:9], v[96:97] neg_lo:[0,0,1] neg_hi:[0,0,1]
	v_mov_b32_e32 v109, v111
	v_pk_add_f32 v[82:83], v[82:83], v[98:99]
	v_mov_b32_e32 v103, v85
	v_pk_fma_f32 v[84:85], v[34:35], s[42:43], v[100:101] neg_lo:[0,0,1] neg_hi:[0,0,1]
	v_pk_add_f32 v[74:75], v[74:75], v[108:109]
	v_pk_mul_f32 v[108:109], v[64:65], s[10:11]
	v_pk_add_f32 v[82:83], v[82:83], v[102:103]
	v_mov_b32_e32 v107, v85
	v_pk_fma_f32 v[84:85], v[36:37], s[12:13], v[104:105] neg_lo:[0,0,1] neg_hi:[0,0,1]
	v_pk_add_f32 v[78:79], v[78:79], v[112:113]
	v_pk_fma_f32 v[112:113], v[68:69], s[2:3], v[108:109] op_sel:[1,0,0] neg_lo:[1,0,0] neg_hi:[1,0,0]
	v_pk_fma_f32 v[114:115], v[38:39], s[2:3], v[108:109]
	v_pk_add_f32 v[82:83], v[82:83], v[106:107]
	v_mov_b32_e32 v111, v85
	v_pk_fma_f32 v[84:85], v[38:39], s[2:3], v[108:109] neg_lo:[0,0,1] neg_hi:[0,0,1]
	v_mov_b32_e32 v113, v115
	v_pk_add_f32 v[82:83], v[82:83], v[110:111]
	v_mov_b32_e32 v115, v85
	v_pk_add_f32 v[82:83], v[82:83], v[114:115]
	global_store_dwordx2 v[70:71], v[82:83], off
	v_pk_mul_f32 v[70:71], v[4:5], s[10:11]
	v_pk_mul_f32 v[86:87], v[40:41], s[48:49]
	v_pk_fma_f32 v[82:83], v[2:3], s[2:3], v[70:71] neg_lo:[1,0,0] neg_hi:[1,0,0]
	v_pk_fma_f32 v[84:85], v[2:3], s[2:3], v[70:71]
	v_pk_fma_f32 v[100:101], v[42:43], s[46:47], v[86:87] neg_lo:[1,0,0] neg_hi:[1,0,0]
	v_mov_b32_e32 v83, v85
	v_pk_fma_f32 v[102:103], v[26:27], s[46:47], v[86:87]
	v_pk_add_f32 v[82:83], v[0:1], v[82:83]
	v_pk_mul_f32 v[88:89], v[44:45], s[16:17]
	v_mov_b32_e32 v101, v103
	v_pk_add_f32 v[82:83], v[82:83], v[100:101]
	v_pk_fma_f32 v[100:101], v[46:47], s[12:13], v[88:89] op_sel:[1,0,0] neg_lo:[1,0,0] neg_hi:[1,0,0]
	v_pk_fma_f32 v[104:105], v[28:29], s[12:13], v[88:89]
	v_pk_mul_f32 v[90:91], v[48:49], s[14:15]
	v_mov_b32_e32 v101, v105
	v_pk_add_f32 v[82:83], v[82:83], v[100:101]
	v_pk_fma_f32 v[100:101], v[50:51], s[6:7], v[90:91] neg_lo:[1,0,0] neg_hi:[1,0,0]
	v_pk_fma_f32 v[106:107], v[30:31], s[6:7], v[90:91]
	v_pk_fma_f32 v[70:71], v[2:3], s[2:3], v[70:71] neg_lo:[0,0,1] neg_hi:[0,0,1]
	v_pk_mul_f32 v[92:93], v[52:53], s[52:53]
	v_mov_b32_e32 v101, v107
	v_mov_b32_e32 v85, v71
	v_pk_add_f32 v[82:83], v[82:83], v[100:101]
	v_pk_fma_f32 v[100:101], v[56:57], s[42:43], v[92:93] op_sel:[1,0,0] neg_lo:[1,0,0] neg_hi:[1,0,0]
	v_pk_fma_f32 v[108:109], v[32:33], s[42:43], v[92:93]
	v_pk_add_f32 v[70:71], v[0:1], v[84:85]
	v_pk_fma_f32 v[84:85], v[26:27], s[46:47], v[86:87] neg_lo:[0,0,1] neg_hi:[0,0,1]
	v_pk_mul_f32 v[94:95], v[54:55], s[34:35]
	v_mov_b32_e32 v101, v109
	v_mov_b32_e32 v103, v85
	v_pk_fma_f32 v[84:85], v[28:29], s[12:13], v[88:89] neg_lo:[0,0,1] neg_hi:[0,0,1]
	v_pk_add_f32 v[82:83], v[82:83], v[100:101]
	v_pk_fma_f32 v[100:101], v[62:63], s[26:27], v[94:95] neg_lo:[1,0,0] neg_hi:[1,0,0]
	v_pk_fma_f32 v[110:111], v[34:35], s[26:27], v[94:95]
	v_pk_add_f32 v[70:71], v[70:71], v[102:103]
	v_mov_b32_e32 v105, v85
	v_pk_fma_f32 v[84:85], v[30:31], s[6:7], v[90:91] neg_lo:[0,0,1] neg_hi:[0,0,1]
	v_pk_mul_f32 v[96:97], v[58:59], s[20:21]
	v_mov_b32_e32 v101, v111
	v_pk_add_f32 v[70:71], v[70:71], v[104:105]
	v_mov_b32_e32 v107, v85
	v_pk_fma_f32 v[84:85], v[32:33], s[42:43], v[92:93] neg_lo:[0,0,1] neg_hi:[0,0,1]
	v_pk_add_f32 v[74:75], v[74:75], v[112:113]
	v_pk_add_f32 v[82:83], v[82:83], v[100:101]
	v_pk_fma_f32 v[100:101], v[66:67], s[8:9], v[96:97] neg_lo:[1,0,0] neg_hi:[1,0,0]
	v_pk_fma_f32 v[112:113], v[36:37], s[8:9], v[96:97]
	v_pk_add_f32 v[70:71], v[70:71], v[106:107]
	v_mov_b32_e32 v109, v85
	v_pk_fma_f32 v[84:85], v[34:35], s[26:27], v[94:95] neg_lo:[0,0,1] neg_hi:[0,0,1]
	v_pk_mul_f32 v[98:99], v[64:65], s[30:31]
	v_mov_b32_e32 v101, v113
	v_pk_add_f32 v[70:71], v[70:71], v[108:109]
	v_mov_b32_e32 v111, v85
	v_pk_fma_f32 v[84:85], v[36:37], s[8:9], v[96:97] neg_lo:[0,0,1] neg_hi:[0,0,1]
	v_pk_add_f32 v[82:83], v[82:83], v[100:101]
	v_pk_fma_f32 v[100:101], v[68:69], s[24:25], v[98:99] op_sel:[1,0,0] neg_lo:[1,0,0] neg_hi:[1,0,0]
	v_pk_fma_f32 v[114:115], v[38:39], s[24:25], v[98:99]
	v_pk_add_f32 v[70:71], v[70:71], v[110:111]
	v_mov_b32_e32 v113, v85
	v_pk_fma_f32 v[84:85], v[38:39], s[24:25], v[98:99] neg_lo:[0,0,1] neg_hi:[0,0,1]
	v_mov_b32_e32 v101, v115
	v_pk_add_f32 v[70:71], v[70:71], v[112:113]
	v_mov_b32_e32 v115, v85
	v_pk_add_f32 v[70:71], v[70:71], v[114:115]
	global_store_dwordx2 v[60:61], v[70:71], off
	v_pk_mul_f32 v[60:61], v[4:5], s[14:15]
	v_pk_mul_f32 v[86:87], v[40:41], s[30:31]
	v_pk_fma_f32 v[70:71], v[2:3], s[6:7], v[60:61] neg_lo:[1,0,0] neg_hi:[1,0,0]
	v_pk_fma_f32 v[84:85], v[2:3], s[6:7], v[60:61]
	v_pk_fma_f32 v[88:89], v[42:43], s[24:25], v[86:87] neg_lo:[1,0,0] neg_hi:[1,0,0]
	v_mov_b32_e32 v71, v85
	v_pk_fma_f32 v[90:91], v[26:27], s[24:25], v[86:87]
	v_pk_add_f32 v[70:71], v[0:1], v[70:71]
	v_mov_b32_e32 v89, v91
	v_pk_add_f32 v[70:71], v[70:71], v[88:89]
	v_pk_mul_f32 v[88:89], v[44:45], s[22:23]
	v_pk_add_f32 v[82:83], v[82:83], v[100:101]
	v_pk_fma_f32 v[92:93], v[46:47], s[18:19], v[88:89] op_sel:[1,0,0] neg_lo:[1,0,0] neg_hi:[1,0,0]
	v_pk_fma_f32 v[94:95], v[28:29], s[18:19], v[88:89]
	v_pk_fma_f32 v[60:61], v[2:3], s[6:7], v[60:61] neg_lo:[0,0,1] neg_hi:[0,0,1]
	v_mov_b32_e32 v93, v95
	v_pk_add_f32 v[70:71], v[70:71], v[92:93]
	v_pk_mul_f32 v[92:93], v[48:49], s[56:57]
	v_mov_b32_e32 v85, v61
	v_pk_fma_f32 v[96:97], v[50:51], s[54:55], v[92:93] neg_lo:[1,0,0] neg_hi:[1,0,0]
	v_pk_fma_f32 v[98:99], v[30:31], s[54:55], v[92:93]
	v_pk_add_f32 v[60:61], v[0:1], v[84:85]
	v_mov_b32_e32 v97, v99
	v_pk_add_f32 v[70:71], v[70:71], v[96:97]
	v_pk_mul_f32 v[96:97], v[52:53], s[16:17]
	v_pk_fma_f32 v[84:85], v[26:27], s[24:25], v[86:87] neg_lo:[0,0,1] neg_hi:[0,0,1]
	v_pk_fma_f32 v[100:101], v[56:57], s[12:13], v[96:97] op_sel:[1,0,0] neg_lo:[1,0,0] neg_hi:[1,0,0]
	v_pk_fma_f32 v[102:103], v[32:33], s[12:13], v[96:97]
	v_mov_b32_e32 v91, v85
	v_mov_b32_e32 v101, v103
	v_pk_add_f32 v[70:71], v[70:71], v[100:101]
	v_pk_mul_f32 v[100:101], v[54:55], s[20:21]
	v_pk_fma_f32 v[84:85], v[28:29], s[18:19], v[88:89] neg_lo:[0,0,1] neg_hi:[0,0,1]
	v_pk_fma_f32 v[104:105], v[62:63], s[8:9], v[100:101] neg_lo:[1,0,0] neg_hi:[1,0,0]
	v_pk_fma_f32 v[106:107], v[34:35], s[8:9], v[100:101]
	v_pk_add_f32 v[60:61], v[60:61], v[90:91]
	v_mov_b32_e32 v105, v107
	v_pk_add_f32 v[70:71], v[70:71], v[104:105]
	v_pk_mul_f32 v[104:105], v[58:59], s[44:45]
	v_mov_b32_e32 v95, v85
	v_pk_fma_f32 v[84:85], v[30:31], s[54:55], v[92:93] neg_lo:[0,0,1] neg_hi:[0,0,1]
	v_pk_fma_f32 v[108:109], v[66:67], s[40:41], v[104:105] neg_lo:[1,0,0] neg_hi:[1,0,0]
	v_pk_fma_f32 v[110:111], v[36:37], s[40:41], v[104:105]
	v_pk_add_f32 v[60:61], v[60:61], v[94:95]
	v_mov_b32_e32 v99, v85
	v_pk_fma_f32 v[84:85], v[32:33], s[12:13], v[96:97] neg_lo:[0,0,1] neg_hi:[0,0,1]
	v_mov_b32_e32 v109, v111
	v_pk_add_f32 v[60:61], v[60:61], v[98:99]
	v_mov_b32_e32 v103, v85
	v_pk_fma_f32 v[84:85], v[34:35], s[8:9], v[100:101] neg_lo:[0,0,1] neg_hi:[0,0,1]
	v_pk_add_f32 v[70:71], v[70:71], v[108:109]
	v_pk_mul_f32 v[108:109], v[64:65], s[4:5]
	v_pk_add_f32 v[60:61], v[60:61], v[102:103]
	v_mov_b32_e32 v107, v85
	v_pk_fma_f32 v[84:85], v[36:37], s[40:41], v[104:105] neg_lo:[0,0,1] neg_hi:[0,0,1]
	v_pk_fma_f32 v[112:113], v[68:69], s[0:1], v[108:109] op_sel:[1,0,0] neg_lo:[1,0,0] neg_hi:[1,0,0]
	v_pk_fma_f32 v[114:115], v[38:39], s[0:1], v[108:109]
	v_pk_add_f32 v[60:61], v[60:61], v[106:107]
	v_mov_b32_e32 v111, v85
	v_pk_fma_f32 v[84:85], v[38:39], s[0:1], v[108:109] neg_lo:[0,0,1] neg_hi:[0,0,1]
	v_mov_b32_e32 v113, v115
	v_pk_add_f32 v[60:61], v[60:61], v[110:111]
	v_mov_b32_e32 v115, v85
	v_pk_add_f32 v[60:61], v[60:61], v[114:115]
	v_pk_mul_f32 v[4:5], v[4:5], s[20:21]
	global_store_dwordx2 v[24:25], v[60:61], off
	v_pk_fma_f32 v[24:25], v[2:3], s[8:9], v[4:5] neg_lo:[1,0,0] neg_hi:[1,0,0]
	v_pk_fma_f32 v[60:61], v[2:3], s[8:9], v[4:5]
	v_pk_mul_f32 v[40:41], v[40:41], s[36:37]
	v_mov_b32_e32 v25, v61
	v_pk_fma_f32 v[42:43], v[42:43], s[28:29], v[40:41] neg_lo:[1,0,0] neg_hi:[1,0,0]
	v_pk_fma_f32 v[84:85], v[26:27], s[28:29], v[40:41]
	v_pk_add_f32 v[24:25], v[0:1], v[24:25]
	v_mov_b32_e32 v43, v85
	v_pk_add_f32 v[24:25], v[24:25], v[42:43]
	v_pk_mul_f32 v[42:43], v[44:45], s[14:15]
	v_pk_fma_f32 v[2:3], v[2:3], s[8:9], v[4:5] neg_lo:[0,0,1] neg_hi:[0,0,1]
	v_pk_fma_f32 v[44:45], v[46:47], s[6:7], v[42:43] op_sel:[1,0,0] neg_lo:[1,0,0] neg_hi:[1,0,0]
	v_pk_fma_f32 v[46:47], v[28:29], s[6:7], v[42:43]
	v_mov_b32_e32 v61, v3
	v_mov_b32_e32 v45, v47
	v_pk_add_f32 v[24:25], v[24:25], v[44:45]
	v_pk_mul_f32 v[44:45], v[48:49], s[44:45]
	v_pk_fma_f32 v[2:3], v[26:27], s[28:29], v[40:41] neg_lo:[0,0,1] neg_hi:[0,0,1]
	v_pk_fma_f32 v[48:49], v[50:51], s[40:41], v[44:45] neg_lo:[1,0,0] neg_hi:[1,0,0]
	v_pk_fma_f32 v[50:51], v[30:31], s[40:41], v[44:45]
	v_pk_add_f32 v[0:1], v[0:1], v[60:61]
	v_mov_b32_e32 v49, v51
	v_pk_add_f32 v[24:25], v[24:25], v[48:49]
	v_pk_mul_f32 v[48:49], v[52:53], s[10:11]
	v_mov_b32_e32 v85, v3
	v_pk_fma_f32 v[52:53], v[56:57], s[2:3], v[48:49] op_sel:[1,0,0] neg_lo:[1,0,0] neg_hi:[1,0,0]
	v_pk_fma_f32 v[56:57], v[32:33], s[2:3], v[48:49]
	v_pk_fma_f32 v[2:3], v[28:29], s[6:7], v[42:43] neg_lo:[0,0,1] neg_hi:[0,0,1]
	v_mov_b32_e32 v53, v57
	v_pk_add_f32 v[24:25], v[24:25], v[52:53]
	v_pk_mul_f32 v[52:53], v[54:55], s[30:31]
	v_pk_add_f32 v[0:1], v[0:1], v[84:85]
	v_pk_fma_f32 v[54:55], v[62:63], s[24:25], v[52:53] neg_lo:[1,0,0] neg_hi:[1,0,0]
	v_pk_fma_f32 v[62:63], v[34:35], s[24:25], v[52:53]
	v_mov_b32_e32 v47, v3
	v_mov_b32_e32 v55, v63
	v_pk_add_f32 v[24:25], v[24:25], v[54:55]
	v_pk_mul_f32 v[54:55], v[58:59], s[4:5]
	v_pk_fma_f32 v[2:3], v[30:31], s[40:41], v[44:45] neg_lo:[0,0,1] neg_hi:[0,0,1]
	v_pk_fma_f32 v[58:59], v[66:67], s[0:1], v[54:55] neg_lo:[1,0,0] neg_hi:[1,0,0]
	v_pk_fma_f32 v[66:67], v[36:37], s[0:1], v[54:55]
	v_pk_add_f32 v[0:1], v[0:1], v[46:47]
	v_mov_b32_e32 v51, v3
	v_pk_fma_f32 v[2:3], v[32:33], s[2:3], v[48:49] neg_lo:[0,0,1] neg_hi:[0,0,1]
	v_mov_b32_e32 v59, v67
	v_pk_add_f32 v[0:1], v[0:1], v[50:51]
	v_mov_b32_e32 v57, v3
	v_pk_fma_f32 v[2:3], v[34:35], s[24:25], v[52:53] neg_lo:[0,0,1] neg_hi:[0,0,1]
	v_pk_add_f32 v[24:25], v[24:25], v[58:59]
	v_pk_mul_f32 v[58:59], v[64:65], s[52:53]
	v_pk_add_f32 v[0:1], v[0:1], v[56:57]
	v_mov_b32_e32 v63, v3
	v_pk_fma_f32 v[2:3], v[36:37], s[0:1], v[54:55] neg_lo:[0,0,1] neg_hi:[0,0,1]
	v_pk_fma_f32 v[64:65], v[68:69], s[42:43], v[58:59] op_sel:[1,0,0] neg_lo:[1,0,0] neg_hi:[1,0,0]
	v_pk_fma_f32 v[68:69], v[38:39], s[42:43], v[58:59]
	v_pk_add_f32 v[0:1], v[0:1], v[62:63]
	v_mov_b32_e32 v67, v3
	v_pk_fma_f32 v[2:3], v[38:39], s[42:43], v[58:59] neg_lo:[0,0,1] neg_hi:[0,0,1]
	v_mov_b32_e32 v65, v69
	v_pk_add_f32 v[0:1], v[0:1], v[66:67]
	v_mov_b32_e32 v69, v3
	v_pk_add_f32 v[0:1], v[0:1], v[68:69]
	v_pk_add_f32 v[70:71], v[70:71], v[112:113]
	v_pk_add_f32 v[24:25], v[24:25], v[64:65]
	global_store_dwordx2 v[6:7], v[0:1], off
	global_store_dwordx2 v[8:9], v[24:25], off
	;; [unrolled: 1-line block ×9, first 2 shown]
.LBB0_32:
	s_endpgm
	.section	.rodata,"a",@progbits
	.p2align	6, 0x0
	.amdhsa_kernel fft_rtc_back_len884_factors_13_4_17_wgs_204_tpt_68_halfLds_sp_op_CI_CI_sbrr_dirReg
		.amdhsa_group_segment_fixed_size 0
		.amdhsa_private_segment_fixed_size 0
		.amdhsa_kernarg_size 104
		.amdhsa_user_sgpr_count 2
		.amdhsa_user_sgpr_dispatch_ptr 0
		.amdhsa_user_sgpr_queue_ptr 0
		.amdhsa_user_sgpr_kernarg_segment_ptr 1
		.amdhsa_user_sgpr_dispatch_id 0
		.amdhsa_user_sgpr_kernarg_preload_length 0
		.amdhsa_user_sgpr_kernarg_preload_offset 0
		.amdhsa_user_sgpr_private_segment_size 0
		.amdhsa_uses_dynamic_stack 0
		.amdhsa_enable_private_segment 0
		.amdhsa_system_sgpr_workgroup_id_x 1
		.amdhsa_system_sgpr_workgroup_id_y 0
		.amdhsa_system_sgpr_workgroup_id_z 0
		.amdhsa_system_sgpr_workgroup_info 0
		.amdhsa_system_vgpr_workitem_id 0
		.amdhsa_next_free_vgpr 116
		.amdhsa_next_free_sgpr 64
		.amdhsa_accum_offset 116
		.amdhsa_reserve_vcc 1
		.amdhsa_float_round_mode_32 0
		.amdhsa_float_round_mode_16_64 0
		.amdhsa_float_denorm_mode_32 3
		.amdhsa_float_denorm_mode_16_64 3
		.amdhsa_dx10_clamp 1
		.amdhsa_ieee_mode 1
		.amdhsa_fp16_overflow 0
		.amdhsa_tg_split 0
		.amdhsa_exception_fp_ieee_invalid_op 0
		.amdhsa_exception_fp_denorm_src 0
		.amdhsa_exception_fp_ieee_div_zero 0
		.amdhsa_exception_fp_ieee_overflow 0
		.amdhsa_exception_fp_ieee_underflow 0
		.amdhsa_exception_fp_ieee_inexact 0
		.amdhsa_exception_int_div_zero 0
	.end_amdhsa_kernel
	.text
.Lfunc_end0:
	.size	fft_rtc_back_len884_factors_13_4_17_wgs_204_tpt_68_halfLds_sp_op_CI_CI_sbrr_dirReg, .Lfunc_end0-fft_rtc_back_len884_factors_13_4_17_wgs_204_tpt_68_halfLds_sp_op_CI_CI_sbrr_dirReg
                                        ; -- End function
	.section	.AMDGPU.csdata,"",@progbits
; Kernel info:
; codeLenInByte = 12764
; NumSgprs: 70
; NumVgprs: 116
; NumAgprs: 0
; TotalNumVgprs: 116
; ScratchSize: 0
; MemoryBound: 0
; FloatMode: 240
; IeeeMode: 1
; LDSByteSize: 0 bytes/workgroup (compile time only)
; SGPRBlocks: 8
; VGPRBlocks: 14
; NumSGPRsForWavesPerEU: 70
; NumVGPRsForWavesPerEU: 116
; AccumOffset: 116
; Occupancy: 4
; WaveLimiterHint : 1
; COMPUTE_PGM_RSRC2:SCRATCH_EN: 0
; COMPUTE_PGM_RSRC2:USER_SGPR: 2
; COMPUTE_PGM_RSRC2:TRAP_HANDLER: 0
; COMPUTE_PGM_RSRC2:TGID_X_EN: 1
; COMPUTE_PGM_RSRC2:TGID_Y_EN: 0
; COMPUTE_PGM_RSRC2:TGID_Z_EN: 0
; COMPUTE_PGM_RSRC2:TIDIG_COMP_CNT: 0
; COMPUTE_PGM_RSRC3_GFX90A:ACCUM_OFFSET: 28
; COMPUTE_PGM_RSRC3_GFX90A:TG_SPLIT: 0
	.text
	.p2alignl 6, 3212836864
	.fill 256, 4, 3212836864
	.type	__hip_cuid_426d18042cff9aa6,@object ; @__hip_cuid_426d18042cff9aa6
	.section	.bss,"aw",@nobits
	.globl	__hip_cuid_426d18042cff9aa6
__hip_cuid_426d18042cff9aa6:
	.byte	0                               ; 0x0
	.size	__hip_cuid_426d18042cff9aa6, 1

	.ident	"AMD clang version 19.0.0git (https://github.com/RadeonOpenCompute/llvm-project roc-6.4.0 25133 c7fe45cf4b819c5991fe208aaa96edf142730f1d)"
	.section	".note.GNU-stack","",@progbits
	.addrsig
	.addrsig_sym __hip_cuid_426d18042cff9aa6
	.amdgpu_metadata
---
amdhsa.kernels:
  - .agpr_count:     0
    .args:
      - .actual_access:  read_only
        .address_space:  global
        .offset:         0
        .size:           8
        .value_kind:     global_buffer
      - .offset:         8
        .size:           8
        .value_kind:     by_value
      - .actual_access:  read_only
        .address_space:  global
        .offset:         16
        .size:           8
        .value_kind:     global_buffer
      - .actual_access:  read_only
        .address_space:  global
        .offset:         24
        .size:           8
        .value_kind:     global_buffer
      - .actual_access:  read_only
        .address_space:  global
        .offset:         32
        .size:           8
        .value_kind:     global_buffer
      - .offset:         40
        .size:           8
        .value_kind:     by_value
      - .actual_access:  read_only
        .address_space:  global
        .offset:         48
        .size:           8
        .value_kind:     global_buffer
      - .actual_access:  read_only
        .address_space:  global
        .offset:         56
        .size:           8
        .value_kind:     global_buffer
      - .offset:         64
        .size:           4
        .value_kind:     by_value
      - .actual_access:  read_only
        .address_space:  global
        .offset:         72
        .size:           8
        .value_kind:     global_buffer
      - .actual_access:  read_only
        .address_space:  global
        .offset:         80
        .size:           8
        .value_kind:     global_buffer
      - .actual_access:  read_only
        .address_space:  global
        .offset:         88
        .size:           8
        .value_kind:     global_buffer
      - .actual_access:  write_only
        .address_space:  global
        .offset:         96
        .size:           8
        .value_kind:     global_buffer
    .group_segment_fixed_size: 0
    .kernarg_segment_align: 8
    .kernarg_segment_size: 104
    .language:       OpenCL C
    .language_version:
      - 2
      - 0
    .max_flat_workgroup_size: 204
    .name:           fft_rtc_back_len884_factors_13_4_17_wgs_204_tpt_68_halfLds_sp_op_CI_CI_sbrr_dirReg
    .private_segment_fixed_size: 0
    .sgpr_count:     70
    .sgpr_spill_count: 0
    .symbol:         fft_rtc_back_len884_factors_13_4_17_wgs_204_tpt_68_halfLds_sp_op_CI_CI_sbrr_dirReg.kd
    .uniform_work_group_size: 1
    .uses_dynamic_stack: false
    .vgpr_count:     116
    .vgpr_spill_count: 0
    .wavefront_size: 64
amdhsa.target:   amdgcn-amd-amdhsa--gfx950
amdhsa.version:
  - 1
  - 2
...

	.end_amdgpu_metadata
